;; amdgpu-corpus repo=ROCm/rocFFT kind=compiled arch=gfx906 opt=O3
	.text
	.amdgcn_target "amdgcn-amd-amdhsa--gfx906"
	.amdhsa_code_object_version 6
	.protected	bluestein_single_back_len1352_dim1_sp_op_CI_CI ; -- Begin function bluestein_single_back_len1352_dim1_sp_op_CI_CI
	.globl	bluestein_single_back_len1352_dim1_sp_op_CI_CI
	.p2align	8
	.type	bluestein_single_back_len1352_dim1_sp_op_CI_CI,@function
bluestein_single_back_len1352_dim1_sp_op_CI_CI: ; @bluestein_single_back_len1352_dim1_sp_op_CI_CI
; %bb.0:
	s_load_dwordx4 s[16:19], s[4:5], 0x28
	s_mov_b64 s[22:23], s[2:3]
	v_mul_u32_u24_e32 v1, 0x4ed, v0
	s_mov_b64 s[20:21], s[0:1]
	v_add_u32_sdwa v164, s6, v1 dst_sel:DWORD dst_unused:UNUSED_PAD src0_sel:DWORD src1_sel:WORD_1
	v_mov_b32_e32 v165, 0
	s_add_u32 s20, s20, s7
	s_waitcnt lgkmcnt(0)
	v_cmp_gt_u64_e32 vcc, s[16:17], v[164:165]
	s_addc_u32 s21, s21, 0
	s_and_saveexec_b64 s[0:1], vcc
	s_cbranch_execz .LBB0_10
; %bb.1:
	s_load_dwordx4 s[0:3], s[4:5], 0x18
	s_load_dwordx4 s[12:15], s[4:5], 0x0
	v_mov_b32_e32 v2, 52
	v_mul_lo_u16_sdwa v1, v1, v2 dst_sel:DWORD dst_unused:UNUSED_PAD src0_sel:WORD_1 src1_sel:DWORD
	v_sub_u16_e32 v225, v0, v1
	s_waitcnt lgkmcnt(0)
	s_load_dwordx4 s[8:11], s[0:1], 0x0
	v_lshlrev_b32_e32 v223, 3, v225
	s_movk_i32 s6, 0x1000
	global_load_dwordx2 v[179:180], v223, s[12:13]
	v_or_b32_e32 v23, 0x340, v225
	s_waitcnt lgkmcnt(0)
	v_mad_u64_u32 v[0:1], s[0:1], s10, v164, 0
	v_mad_u64_u32 v[2:3], s[0:1], s8, v225, 0
	s_mul_hi_u32 s7, s8, 0xffffec80
	s_sub_i32 s7, s7, s8
	v_mad_u64_u32 v[4:5], s[0:1], s11, v164, v[1:2]
	v_add_u32_e32 v68, 0x1400, v223
	v_add_u32_e32 v98, 0x1800, v223
	v_mad_u64_u32 v[5:6], s[0:1], s9, v225, v[3:4]
	v_mov_b32_e32 v1, v4
	v_lshlrev_b64 v[0:1], 3, v[0:1]
	v_mov_b32_e32 v6, s19
	v_mov_b32_e32 v3, v5
	v_add_co_u32_e32 v21, vcc, s18, v0
	v_addc_co_u32_e32 v22, vcc, v6, v1, vcc
	v_lshlrev_b64 v[0:1], 3, v[2:3]
	v_mov_b32_e32 v2, s13
	v_add_co_u32_e32 v0, vcc, v21, v0
	v_addc_co_u32_e32 v1, vcc, v22, v1, vcc
	v_add_co_u32_e32 v25, vcc, s12, v223
	s_mul_i32 s0, s9, 0x1520
	s_mul_hi_u32 s1, s8, 0x1520
	v_addc_co_u32_e32 v26, vcc, 0, v2, vcc
	s_add_i32 s0, s1, s0
	s_mul_i32 s1, s8, 0x1520
	v_mov_b32_e32 v3, s0
	v_add_co_u32_e32 v2, vcc, s1, v0
	v_addc_co_u32_e32 v3, vcc, v1, v3, vcc
	global_load_dwordx2 v[4:5], v[0:1], off
	global_load_dwordx2 v[6:7], v[2:3], off
	v_add_co_u32_e32 v0, vcc, s6, v25
	s_mul_i32 s6, s9, 0xffffec80
	v_addc_co_u32_e32 v1, vcc, 0, v26, vcc
	s_add_i32 s6, s7, s6
	s_mul_i32 s7, s8, 0xffffec80
	v_mov_b32_e32 v8, s6
	v_add_co_u32_e32 v2, vcc, s7, v2
	v_addc_co_u32_e32 v3, vcc, v3, v8, vcc
	v_mov_b32_e32 v9, s0
	v_add_co_u32_e32 v8, vcc, s1, v2
	v_addc_co_u32_e32 v9, vcc, v3, v9, vcc
	v_mov_b32_e32 v11, s6
	v_add_co_u32_e32 v10, vcc, s7, v8
	global_load_dwordx2 v[175:176], v[0:1], off offset:1312
	v_addc_co_u32_e32 v11, vcc, v9, v11, vcc
	global_load_dwordx2 v[12:13], v[2:3], off
	global_load_dwordx2 v[14:15], v[8:9], off
	;; [unrolled: 1-line block ×3, first 2 shown]
	global_load_dwordx2 v[181:182], v223, s[12:13] offset:416
	global_load_dwordx2 v[165:166], v223, s[12:13] offset:832
	v_mov_b32_e32 v3, s0
	v_add_co_u32_e32 v2, vcc, s1, v10
	v_addc_co_u32_e32 v3, vcc, v11, v3, vcc
	v_mad_u64_u32 v[10:11], s[10:11], s8, v23, 0
	global_load_dwordx2 v[8:9], v[2:3], off
	global_load_dwordx2 v[183:184], v[0:1], off offset:1728
	global_load_dwordx2 v[171:172], v[0:1], off offset:2144
	v_mov_b32_e32 v20, s6
	v_add_co_u32_e32 v2, vcc, s7, v2
	v_addc_co_u32_e32 v3, vcc, v3, v20, vcc
	v_mov_b32_e32 v28, s0
	v_mov_b32_e32 v30, s6
	;; [unrolled: 1-line block ×7, first 2 shown]
	v_add_u32_e32 v99, 0x400, v223
	v_add_u32_e32 v100, 0x800, v223
	;; [unrolled: 1-line block ×5, first 2 shown]
	v_lshlrev_b32_e32 v233, 4, v225
	s_mov_b32 s16, 0x3f62ad3f
	s_mov_b32 s17, 0xbeb58ec6
	;; [unrolled: 1-line block ×4, first 2 shown]
	s_waitcnt vmcnt(7)
	v_mad_u64_u32 v[18:19], s[10:11], s9, v23, v[11:12]
	global_load_dwordx2 v[19:20], v[2:3], off
	global_load_dwordx2 v[167:168], v223, s[12:13] offset:1248
	v_mov_b32_e32 v11, v18
	v_lshlrev_b64 v[10:11], 3, v[10:11]
	v_lshlrev_b32_e32 v18, 3, v23
	v_add_co_u32_e32 v10, vcc, v21, v10
	v_addc_co_u32_e32 v11, vcc, v22, v11, vcc
	global_load_dwordx2 v[10:11], v[10:11], off
	v_add_co_u32_e32 v50, vcc, 52, v225
	global_load_dwordx2 v[162:163], v18, s[12:13]
	s_nop 0
	buffer_store_dword v18, off, s[20:23], 0 offset:12 ; 4-byte Folded Spill
	v_mov_b32_e32 v18, 0x1a0
	v_mad_u64_u32 v[2:3], s[10:11], s8, v18, v[2:3]
	s_mul_i32 s8, s9, 0x1a0
	buffer_store_dword v23, off, s[20:23], 0 ; 4-byte Folded Spill
	v_add_u32_e32 v3, s8, v3
	global_load_dwordx2 v[21:22], v[2:3], off
	global_load_dwordx2 v[158:159], v223, s[12:13] offset:1664
	v_mul_f32_e32 v23, v5, v180
	v_fmac_f32_e32 v23, v4, v179
	v_mul_f32_e32 v4, v4, v180
	v_fma_f32 v24, v5, v179, -v4
	v_mul_f32_e32 v4, v7, v176
	v_mul_f32_e32 v5, v6, v176
	v_fmac_f32_e32 v4, v6, v175
	v_fma_f32 v5, v7, v175, -v5
	s_load_dwordx4 s[8:11], s[2:3], 0x0
	global_load_dwordx2 v[152:153], v[0:1], off offset:64
	global_load_dwordx2 v[150:151], v[0:1], off offset:480
	;; [unrolled: 1-line block ×3, first 2 shown]
	ds_write_b64 v223, v[4:5] offset:5408
	s_waitcnt vmcnt(15)
	v_mul_f32_e32 v4, v13, v182
	v_mul_f32_e32 v5, v12, v182
	v_fmac_f32_e32 v4, v12, v181
	v_fma_f32 v5, v13, v181, -v5
	s_waitcnt vmcnt(11)
	v_mul_f32_e32 v12, v9, v172
	ds_write2_b64 v223, v[23:24], v[4:5] offset1:52
	v_mul_f32_e32 v4, v15, v184
	v_mul_f32_e32 v5, v14, v184
	v_fmac_f32_e32 v12, v8, v171
	v_mul_f32_e32 v8, v8, v172
	v_fmac_f32_e32 v4, v14, v183
	v_fma_f32 v5, v15, v183, -v5
	v_fma_f32 v13, v9, v171, -v8
	global_load_dwordx2 v[199:200], v[0:1], off offset:2976
	global_load_dwordx2 v[195:196], v[0:1], off offset:3392
	v_mul_f32_e32 v6, v17, v166
	v_mul_f32_e32 v7, v16, v166
	ds_write2_b64 v68, v[4:5], v[12:13] offset0:88 offset1:140
	v_fmac_f32_e32 v6, v16, v165
	v_fma_f32 v7, v17, v165, -v7
	v_mov_b32_e32 v8, s0
	v_add_co_u32_e32 v2, vcc, s1, v2
	v_addc_co_u32_e32 v3, vcc, v3, v8, vcc
	v_mov_b32_e32 v12, s0
	v_mov_b32_e32 v14, s6
	v_mov_b32_e32 v16, s0
	v_mov_b32_e32 v18, s0
	s_movk_i32 s2, 0x2000
	v_mov_b32_e32 v24, s0
	s_movk_i32 s0, 0xffe6
	s_waitcnt vmcnt(11)
	v_mul_f32_e32 v4, v20, v168
	v_mul_f32_e32 v5, v19, v168
	v_fmac_f32_e32 v4, v19, v167
	v_fma_f32 v5, v20, v167, -v5
	ds_write2_b64 v223, v[6:7], v[4:5] offset0:104 offset1:156
	global_load_dwordx2 v[197:198], v223, s[12:13] offset:2080
	global_load_dwordx2 v[191:192], v223, s[12:13] offset:2496
	;; [unrolled: 1-line block ×3, first 2 shown]
	global_load_dwordx2 v[8:9], v[2:3], off
	v_add_co_u32_e32 v2, vcc, s7, v2
	s_waitcnt vmcnt(13)
	v_mul_f32_e32 v4, v11, v163
	v_fmac_f32_e32 v4, v10, v162
	v_mul_f32_e32 v5, v10, v163
	v_mov_b32_e32 v10, s6
	v_addc_co_u32_e32 v3, vcc, v3, v10, vcc
	v_fma_f32 v5, v11, v162, -v5
	global_load_dwordx2 v[10:11], v[2:3], off
	v_add_co_u32_e32 v2, vcc, s1, v2
	v_addc_co_u32_e32 v3, vcc, v3, v12, vcc
	global_load_dwordx2 v[12:13], v[2:3], off
	v_add_co_u32_e32 v2, vcc, s7, v2
	v_addc_co_u32_e32 v3, vcc, v3, v14, vcc
	;; [unrolled: 3-line block ×3, first 2 shown]
	global_load_dwordx2 v[16:17], v[2:3], off
	global_load_dwordx2 v[193:194], v[0:1], off offset:3808
	v_mov_b32_e32 v1, s6
	v_add_co_u32_e32 v0, vcc, s7, v2
	v_addc_co_u32_e32 v1, vcc, v3, v1, vcc
	global_load_dwordx2 v[2:3], v[0:1], off
	v_add_co_u32_e32 v0, vcc, s1, v0
	v_addc_co_u32_e32 v1, vcc, v1, v18, vcc
	s_waitcnt vmcnt(15)
	v_mul_f32_e32 v6, v22, v159
	v_add_co_u32_e32 v20, vcc, s2, v25
	v_fmac_f32_e32 v6, v21, v158
	v_mul_f32_e32 v7, v21, v159
	v_addc_co_u32_e32 v21, vcc, 0, v26, vcc
	v_fma_f32 v7, v22, v158, -v7
	global_load_dwordx2 v[18:19], v[0:1], off
	v_mov_b32_e32 v22, s6
	v_add_co_u32_e32 v0, vcc, s7, v0
	v_addc_co_u32_e32 v1, vcc, v1, v22, vcc
	global_load_dwordx2 v[22:23], v[0:1], off
	v_add_co_u32_e32 v0, vcc, s1, v0
	v_addc_co_u32_e32 v1, vcc, v1, v24, vcc
	global_load_dwordx2 v[24:25], v[0:1], off
	v_mov_b32_e32 v26, s6
	v_add_co_u32_e32 v0, vcc, s7, v0
	v_addc_co_u32_e32 v1, vcc, v1, v26, vcc
	global_load_dwordx2 v[189:190], v[20:21], off offset:128
	global_load_dwordx2 v[26:27], v[0:1], off
	global_load_dwordx2 v[185:186], v223, s[12:13] offset:3328
	global_load_dwordx2 v[173:174], v223, s[12:13] offset:3744
	v_add_co_u32_e32 v0, vcc, s1, v0
	v_addc_co_u32_e32 v1, vcc, v1, v28, vcc
	global_load_dwordx2 v[28:29], v[0:1], off
	global_load_dwordx2 v[177:178], v[20:21], off offset:544
	global_load_dwordx2 v[169:170], v[20:21], off offset:960
	v_add_co_u32_e32 v0, vcc, s7, v0
	v_addc_co_u32_e32 v1, vcc, v1, v30, vcc
	global_load_dwordx2 v[30:31], v[0:1], off
	v_add_co_u32_e32 v0, vcc, s1, v0
	v_addc_co_u32_e32 v1, vcc, v1, v32, vcc
	global_load_dwordx2 v[32:33], v[0:1], off
	global_load_dwordx2 v[160:161], v[20:21], off offset:1376
	v_add_co_u32_e32 v0, vcc, s7, v0
	v_addc_co_u32_e32 v1, vcc, v1, v34, vcc
	global_load_dwordx2 v[34:35], v[0:1], off
	v_add_co_u32_e32 v0, vcc, s1, v0
	v_addc_co_u32_e32 v1, vcc, v1, v36, vcc
	global_load_dwordx2 v[36:37], v[0:1], off
	;; [unrolled: 7-line block ×3, first 2 shown]
	global_load_dwordx2 v[154:155], v[20:21], off offset:2208
	s_waitcnt vmcnt(25)
	v_mul_f32_e32 v0, v9, v200
	v_mul_f32_e32 v1, v8, v200
	v_fmac_f32_e32 v0, v8, v199
	v_fma_f32 v1, v9, v199, -v1
	ds_write2_b64 v98, v[4:5], v[0:1] offset0:64 offset1:116
	s_waitcnt vmcnt(24)
	v_mul_f32_e32 v0, v11, v198
	v_mul_f32_e32 v1, v10, v198
	v_fmac_f32_e32 v0, v10, v197
	v_fma_f32 v1, v11, v197, -v1
	ds_write2_b64 v99, v[6:7], v[0:1] offset0:80 offset1:132
	s_waitcnt vmcnt(23)
	v_mul_f32_e32 v0, v13, v196
	v_mul_f32_e32 v1, v12, v196
	s_waitcnt vmcnt(20)
	v_mul_f32_e32 v6, v17, v194
	v_mul_f32_e32 v7, v16, v194
	v_fmac_f32_e32 v0, v12, v195
	v_fma_f32 v1, v13, v195, -v1
	v_fmac_f32_e32 v6, v16, v193
	v_fma_f32 v7, v17, v193, -v7
	v_mul_f32_e32 v4, v15, v192
	v_mul_f32_e32 v5, v14, v192
	ds_write2_b64 v98, v[0:1], v[6:7] offset0:168 offset1:220
	s_waitcnt vmcnt(19)
	v_mul_f32_e32 v0, v3, v188
	v_mul_f32_e32 v1, v2, v188
	v_fmac_f32_e32 v4, v14, v191
	v_fma_f32 v5, v15, v191, -v5
	v_fmac_f32_e32 v0, v2, v187
	v_fma_f32 v1, v3, v187, -v1
	ds_write2_b64 v100, v[4:5], v[0:1] offset0:56 offset1:108
	s_mov_b32 s7, 0x3f116cb1
	s_mov_b32 s6, 0x3df6dbef
	v_add_co_u32_e32 v201, vcc, s0, v225
	v_cmp_gt_u16_e32 vcc, 26, v225
	s_load_dwordx2 s[2:3], s[4:5], 0x38
	s_waitcnt vmcnt(15)
	v_mul_f32_e32 v0, v19, v190
	v_mul_f32_e32 v1, v18, v190
	v_fmac_f32_e32 v0, v18, v189
	v_fma_f32 v1, v19, v189, -v1
	s_waitcnt vmcnt(13)
	v_mul_f32_e32 v2, v23, v186
	s_waitcnt vmcnt(10)
	v_mul_f32_e32 v4, v25, v178
	v_mul_f32_e32 v5, v24, v178
	v_fmac_f32_e32 v4, v24, v177
	v_fma_f32 v5, v25, v177, -v5
	v_mul_f32_e32 v3, v22, v186
	ds_write2_b64 v112, v[0:1], v[4:5] offset0:16 offset1:68
	v_mul_f32_e32 v0, v27, v174
	v_mul_f32_e32 v1, v26, v174
	v_fmac_f32_e32 v2, v22, v185
	v_fma_f32 v3, v23, v185, -v3
	v_fmac_f32_e32 v0, v26, v173
	v_fma_f32 v1, v27, v173, -v1
	ds_write2_b64 v100, v[2:3], v[0:1] offset0:160 offset1:212
	s_waitcnt vmcnt(9)
	v_mul_f32_e32 v0, v29, v170
	v_mul_f32_e32 v1, v28, v170
	s_waitcnt vmcnt(6)
	v_mul_f32_e32 v4, v33, v161
	v_mul_f32_e32 v5, v32, v161
	v_fmac_f32_e32 v0, v28, v169
	v_fma_f32 v1, v29, v169, -v1
	v_fmac_f32_e32 v4, v32, v160
	v_fma_f32 v5, v33, v160, -v5
	v_mul_f32_e32 v2, v31, v153
	v_mul_f32_e32 v3, v30, v153
	ds_write2_b64 v112, v[0:1], v[4:5] offset0:120 offset1:172
	s_waitcnt vmcnt(5)
	v_mul_f32_e32 v0, v35, v151
	v_mul_f32_e32 v1, v34, v151
	v_fmac_f32_e32 v2, v30, v152
	v_fma_f32 v3, v31, v152, -v3
	v_fmac_f32_e32 v0, v34, v150
	v_fma_f32 v1, v35, v150, -v1
	ds_write2_b64 v113, v[2:3], v[0:1] offset0:8 offset1:60
	s_waitcnt vmcnt(2)
	v_mul_f32_e32 v2, v39, v149
	v_mul_f32_e32 v3, v38, v149
	v_fmac_f32_e32 v2, v38, v148
	v_fma_f32 v3, v39, v148, -v3
	v_mul_f32_e32 v0, v37, v157
	v_mul_f32_e32 v1, v36, v157
	ds_write_b64 v223, v[2:3] offset:4992
	s_waitcnt vmcnt(0)
	v_mul_f32_e32 v2, v41, v155
	v_mul_f32_e32 v3, v40, v155
	v_fmac_f32_e32 v0, v36, v156
	v_fma_f32 v1, v37, v156, -v1
	v_fmac_f32_e32 v2, v40, v154
	v_fma_f32 v3, v41, v154, -v3
	ds_write2_b64 v69, v[0:1], v[2:3] offset0:96 offset1:148
	s_waitcnt lgkmcnt(0)
	; wave barrier
	s_waitcnt lgkmcnt(0)
	ds_read2_b64 v[0:3], v223 offset1:52
	ds_read2_b64 v[4:7], v113 offset0:112 offset1:164
	ds_read2_b64 v[8:11], v68 offset0:88 offset1:140
	ds_read2_b64 v[12:15], v223 offset0:104 offset1:156
	ds_read2_b64 v[16:19], v98 offset0:64 offset1:116
	ds_read2_b64 v[20:23], v99 offset0:80 offset1:132
	ds_read2_b64 v[24:27], v98 offset0:168 offset1:220
	ds_read2_b64 v[28:31], v100 offset0:56 offset1:108
	ds_read2_b64 v[32:35], v112 offset0:16 offset1:68
	ds_read2_b64 v[36:39], v100 offset0:160 offset1:212
	ds_read2_b64 v[40:43], v112 offset0:120 offset1:172
	ds_read2_b64 v[44:47], v113 offset0:8 offset1:60
	ds_read2_b64 v[51:54], v69 offset0:96 offset1:148
	s_waitcnt lgkmcnt(10)
	v_sub_f32_e32 v8, v2, v8
	v_sub_f32_e32 v57, v0, v6
	v_fma_f32 v6, v2, 2.0, -v8
	s_waitcnt lgkmcnt(9)
	v_sub_f32_e32 v2, v12, v10
	v_fma_f32 v55, v0, 2.0, -v57
	v_fma_f32 v0, v12, 2.0, -v2
	s_waitcnt lgkmcnt(8)
	v_sub_f32_e32 v12, v14, v16
	s_waitcnt lgkmcnt(7)
	v_sub_f32_e32 v16, v20, v18
	v_sub_f32_e32 v9, v3, v9
	v_fma_f32 v10, v14, 2.0, -v12
	v_fma_f32 v14, v20, 2.0, -v16
	s_waitcnt lgkmcnt(6)
	v_sub_f32_e32 v20, v22, v24
	s_waitcnt lgkmcnt(5)
	v_sub_f32_e32 v24, v28, v26
	v_sub_f32_e32 v58, v1, v7
	v_fma_f32 v7, v3, 2.0, -v9
	v_sub_f32_e32 v3, v13, v11
	v_fma_f32 v18, v22, 2.0, -v20
	v_fma_f32 v22, v28, 2.0, -v24
	s_waitcnt lgkmcnt(4)
	v_sub_f32_e32 v28, v30, v32
	s_waitcnt lgkmcnt(3)
	v_sub_f32_e32 v32, v36, v34
	v_fma_f32 v56, v1, 2.0, -v58
	v_fma_f32 v1, v13, 2.0, -v3
	v_sub_f32_e32 v13, v15, v17
	v_sub_f32_e32 v17, v21, v19
	v_fma_f32 v26, v30, 2.0, -v28
	v_fma_f32 v30, v36, 2.0, -v32
	s_waitcnt lgkmcnt(2)
	v_sub_f32_e32 v36, v38, v40
	s_waitcnt lgkmcnt(1)
	v_sub_f32_e32 v40, v44, v42
	v_fma_f32 v11, v15, 2.0, -v13
	v_fma_f32 v15, v21, 2.0, -v17
	v_sub_f32_e32 v21, v23, v25
	v_sub_f32_e32 v25, v29, v27
	v_fma_f32 v34, v38, 2.0, -v36
	v_fma_f32 v38, v44, 2.0, -v40
	s_waitcnt lgkmcnt(0)
	v_sub_f32_e32 v44, v46, v51
	v_sub_f32_e32 v48, v4, v53
	v_fma_f32 v19, v23, 2.0, -v21
	v_fma_f32 v23, v29, 2.0, -v25
	v_sub_f32_e32 v29, v31, v33
	v_sub_f32_e32 v33, v37, v35
	v_fma_f32 v42, v46, 2.0, -v44
	v_fma_f32 v46, v4, 2.0, -v48
	v_lshlrev_b16_e32 v4, 1, v225
	v_fma_f32 v27, v31, 2.0, -v29
	v_fma_f32 v31, v37, 2.0, -v33
	v_sub_f32_e32 v37, v39, v41
	v_sub_f32_e32 v41, v45, v43
	v_lshlrev_b32_e32 v4, 3, v4
	v_fma_f32 v35, v39, 2.0, -v37
	v_fma_f32 v39, v45, 2.0, -v41
	v_sub_f32_e32 v45, v47, v52
	v_sub_f32_e32 v49, v5, v54
	s_waitcnt lgkmcnt(0)
	; wave barrier
	buffer_store_dword v4, off, s[20:23], 0 offset:4 ; 4-byte Folded Spill
	ds_write_b128 v4, v[55:58]
	v_lshlrev_b32_e32 v4, 4, v50
	v_and_b32_e32 v51, 1, v225
	v_fma_f32 v43, v47, 2.0, -v45
	v_fma_f32 v47, v5, 2.0, -v49
	buffer_store_dword v4, off, s[20:23], 0 offset:8 ; 4-byte Folded Spill
	ds_write_b128 v4, v[6:9]
	ds_write_b128 v233, v[0:3] offset:1664
	ds_write_b128 v233, v[10:13] offset:2496
	;; [unrolled: 1-line block ×11, first 2 shown]
	v_mul_u32_u24_e32 v0, 12, v51
	v_lshlrev_b32_e32 v24, 3, v0
	s_waitcnt lgkmcnt(0)
	; wave barrier
	s_waitcnt lgkmcnt(0)
	global_load_dwordx4 v[16:19], v24, s[14:15]
	global_load_dwordx4 v[8:11], v24, s[14:15] offset:16
	global_load_dwordx4 v[4:7], v24, s[14:15] offset:32
	;; [unrolled: 1-line block ×5, first 2 shown]
	ds_read2_b64 v[24:27], v223 offset1:52
	ds_read2_b64 v[28:31], v223 offset0:104 offset1:156
	ds_read2_b64 v[32:35], v99 offset0:80 offset1:132
	;; [unrolled: 1-line block ×12, first 2 shown]
	s_waitcnt lgkmcnt(0)
	; wave barrier
	s_waitcnt vmcnt(5) lgkmcnt(0)
	v_mul_f32_e32 v48, v29, v17
	v_fma_f32 v48, v28, v16, -v48
	v_mul_f32_e32 v49, v28, v17
	v_mul_f32_e32 v28, v33, v19
	v_fma_f32 v82, v32, v18, -v28
	v_mul_f32_e32 v32, v32, v19
	s_waitcnt vmcnt(4)
	v_mul_f32_e32 v28, v37, v9
	v_fmac_f32_e32 v32, v33, v18
	v_fma_f32 v33, v36, v8, -v28
	v_mul_f32_e32 v36, v36, v9
	v_mul_f32_e32 v28, v41, v11
	v_fmac_f32_e32 v36, v37, v8
	v_fma_f32 v37, v40, v10, -v28
	v_mul_f32_e32 v40, v40, v11
	s_waitcnt vmcnt(3)
	v_mul_f32_e32 v28, v45, v5
	v_fmac_f32_e32 v40, v41, v10
	v_fma_f32 v41, v44, v4, -v28
	v_mul_f32_e32 v44, v44, v5
	v_mul_f32_e32 v28, v53, v7
	v_fmac_f32_e32 v44, v45, v4
	v_fma_f32 v45, v52, v6, -v28
	s_waitcnt vmcnt(2)
	v_mul_f32_e32 v28, v57, v1
	v_fma_f32 v84, v56, v0, -v28
	v_mul_f32_e32 v28, v61, v3
	v_fma_f32 v86, v60, v2, -v28
	s_waitcnt vmcnt(1)
	v_mul_f32_e32 v28, v65, v21
	v_fma_f32 v88, v64, v20, -v28
	v_mul_f32_e32 v28, v71, v23
	;; [unrolled: 5-line block ×3, first 2 shown]
	v_fma_f32 v94, v78, v14, -v28
	v_mul_f32_e32 v28, v31, v17
	v_mul_f32_e32 v93, v74, v13
	v_fma_f32 v74, v30, v16, -v28
	v_mul_f32_e32 v28, v35, v19
	v_mul_f32_e32 v91, v70, v23
	;; [unrolled: 3-line block ×6, first 2 shown]
	v_fma_f32 v52, v54, v6, -v28
	v_mul_f32_e32 v28, v59, v1
	v_fmac_f32_e32 v83, v53, v6
	v_mul_f32_e32 v53, v54, v7
	v_fma_f32 v54, v58, v0, -v28
	v_mul_f32_e32 v28, v63, v3
	v_fmac_f32_e32 v53, v55, v6
	v_mul_f32_e32 v55, v58, v1
	;; [unrolled: 4-line block ×4, first 2 shown]
	v_fma_f32 v66, v72, v22, -v28
	v_mul_f32_e32 v28, v77, v13
	v_fmac_f32_e32 v49, v29, v16
	v_fmac_f32_e32 v63, v67, v20
	v_mul_f32_e32 v67, v72, v23
	v_fma_f32 v72, v76, v12, -v28
	v_mul_f32_e32 v28, v81, v15
	v_fmac_f32_e32 v67, v73, v22
	v_mul_f32_e32 v73, v76, v13
	v_fma_f32 v76, v80, v14, -v28
	v_add_f32_e32 v28, v24, v48
	v_add_f32_e32 v29, v25, v49
	;; [unrolled: 1-line block ×10, first 2 shown]
	v_fmac_f32_e32 v85, v57, v0
	v_add_f32_e32 v28, v28, v45
	v_add_f32_e32 v29, v29, v83
	v_fmac_f32_e32 v87, v61, v2
	v_add_f32_e32 v28, v28, v84
	v_add_f32_e32 v29, v29, v85
	;; [unrolled: 3-line block ×3, first 2 shown]
	v_fmac_f32_e32 v91, v71, v22
	v_mul_f32_e32 v78, v78, v15
	v_add_f32_e32 v28, v28, v88
	v_add_f32_e32 v29, v29, v89
	v_fmac_f32_e32 v93, v75, v12
	v_fmac_f32_e32 v78, v79, v14
	v_mul_f32_e32 v71, v34, v19
	v_add_f32_e32 v28, v28, v90
	v_add_f32_e32 v29, v29, v91
	v_sub_f32_e32 v34, v48, v94
	v_mul_f32_e32 v75, v30, v17
	v_fmac_f32_e32 v71, v35, v18
	v_mul_f32_e32 v61, v42, v11
	v_fmac_f32_e32 v73, v77, v12
	v_mul_f32_e32 v77, v80, v15
	v_add_f32_e32 v28, v28, v92
	v_add_f32_e32 v29, v29, v93
	;; [unrolled: 1-line block ×3, first 2 shown]
	v_sub_f32_e32 v35, v49, v78
	v_mul_f32_e32 v42, 0xbeedf032, v34
	v_mul_f32_e32 v48, 0xbf52af12, v34
	v_mul_f32_e32 v80, 0xbf7e222b, v34
	v_mul_f32_e32 v96, 0xbf6f5d39, v34
	v_mul_f32_e32 v103, 0xbf29c268, v34
	v_mul_f32_e32 v34, 0xbe750f2a, v34
	v_fmac_f32_e32 v75, v31, v16
	v_mul_f32_e32 v65, v38, v9
	v_fmac_f32_e32 v61, v43, v10
	v_mul_f32_e32 v57, v46, v5
	v_fmac_f32_e32 v77, v81, v14
	v_add_f32_e32 v28, v28, v94
	v_add_f32_e32 v29, v29, v78
	v_add_f32_e32 v31, v49, v78
	v_mul_f32_e32 v38, 0xbeedf032, v35
	v_mov_b32_e32 v43, v42
	v_mul_f32_e32 v46, 0xbf52af12, v35
	v_mov_b32_e32 v49, v48
	;; [unrolled: 2-line block ×6, first 2 shown]
	v_fmac_f32_e32 v65, v39, v8
	v_fmac_f32_e32 v57, v47, v4
	v_fma_f32 v39, v30, s16, -v38
	v_fmac_f32_e32 v43, 0x3f62ad3f, v31
	v_fmac_f32_e32 v38, 0x3f62ad3f, v30
	v_fma_f32 v42, v31, s16, -v42
	v_fma_f32 v47, v30, s7, -v46
	v_fmac_f32_e32 v49, 0x3f116cb1, v31
	v_fmac_f32_e32 v46, 0x3f116cb1, v30
	v_fma_f32 v48, v31, s7, -v48
	;; [unrolled: 4-line block ×6, first 2 shown]
	v_add_f32_e32 v31, v32, v93
	v_sub_f32_e32 v32, v32, v93
	v_add_f32_e32 v39, v24, v39
	v_add_f32_e32 v43, v25, v43
	;; [unrolled: 1-line block ×25, first 2 shown]
	v_mul_f32_e32 v35, 0xbf52af12, v32
	v_sub_f32_e32 v34, v82, v92
	v_fma_f32 v82, v30, s7, -v35
	v_add_f32_e32 v39, v82, v39
	v_mul_f32_e32 v82, 0xbf52af12, v34
	v_fmac_f32_e32 v35, 0x3f116cb1, v30
	v_add_f32_e32 v35, v35, v38
	v_fma_f32 v38, v31, s7, -v82
	v_add_f32_e32 v38, v38, v42
	v_mul_f32_e32 v42, 0xbf6f5d39, v32
	v_mov_b32_e32 v92, v82
	v_fma_f32 v82, v30, s17, -v42
	v_add_f32_e32 v47, v82, v47
	v_mul_f32_e32 v82, 0xbf6f5d39, v34
	v_fmac_f32_e32 v42, 0xbeb58ec6, v30
	v_add_f32_e32 v42, v42, v46
	v_fma_f32 v46, v31, s17, -v82
	v_fmac_f32_e32 v92, 0x3f116cb1, v31
	v_add_f32_e32 v46, v46, v48
	v_mul_f32_e32 v48, 0xbe750f2a, v32
	v_add_f32_e32 v43, v92, v43
	v_mov_b32_e32 v92, v82
	v_fma_f32 v82, v30, s19, -v48
	v_fmac_f32_e32 v92, 0xbeb58ec6, v31
	v_add_f32_e32 v79, v82, v79
	v_mul_f32_e32 v82, 0xbe750f2a, v34
	v_fmac_f32_e32 v48, 0xbf788fa5, v30
	v_add_f32_e32 v49, v92, v49
	v_mov_b32_e32 v92, v82
	v_add_f32_e32 v48, v48, v78
	v_fma_f32 v78, v31, s19, -v82
	v_fmac_f32_e32 v92, 0xbf788fa5, v31
	v_add_f32_e32 v78, v78, v80
	v_mul_f32_e32 v80, 0x3f29c268, v32
	v_add_f32_e32 v81, v92, v81
	v_fma_f32 v82, v30, s18, -v80
	v_mul_f32_e32 v92, 0x3f29c268, v34
	v_fmac_f32_e32 v80, 0xbf3f9e67, v30
	v_mov_b32_e32 v93, v92
	v_add_f32_e32 v80, v80, v94
	v_fma_f32 v92, v31, s18, -v92
	v_mul_f32_e32 v94, 0x3f7e222b, v32
	v_add_f32_e32 v82, v82, v95
	v_add_f32_e32 v92, v92, v96
	v_fma_f32 v95, v30, s6, -v94
	v_mul_f32_e32 v96, 0x3f7e222b, v34
	v_fmac_f32_e32 v94, 0x3df6dbef, v30
	v_mul_f32_e32 v32, 0x3eedf032, v32
	v_mul_f32_e32 v34, 0x3eedf032, v34
	v_add_f32_e32 v94, v94, v101
	v_fma_f32 v101, v30, s16, -v32
	v_fmac_f32_e32 v32, 0x3f62ad3f, v30
	v_fma_f32 v30, v31, s16, -v34
	v_fmac_f32_e32 v93, 0xbf3f9e67, v31
	v_add_f32_e32 v24, v32, v24
	v_add_f32_e32 v25, v30, v25
	;; [unrolled: 1-line block ×3, first 2 shown]
	v_sub_f32_e32 v32, v33, v90
	v_sub_f32_e32 v33, v36, v91
	v_add_f32_e32 v93, v93, v97
	v_add_f32_e32 v95, v95, v102
	v_mov_b32_e32 v97, v96
	v_mov_b32_e32 v102, v34
	v_mul_f32_e32 v34, 0xbf7e222b, v33
	v_fmac_f32_e32 v97, 0x3df6dbef, v31
	v_fma_f32 v96, v31, s6, -v96
	v_fmac_f32_e32 v102, 0x3f62ad3f, v31
	v_add_f32_e32 v31, v36, v91
	v_fma_f32 v36, v30, s6, -v34
	v_add_f32_e32 v36, v36, v39
	v_mul_f32_e32 v39, 0xbf7e222b, v32
	v_fmac_f32_e32 v34, 0x3df6dbef, v30
	v_add_f32_e32 v34, v34, v35
	v_fma_f32 v35, v31, s6, -v39
	v_add_f32_e32 v35, v35, v38
	v_mul_f32_e32 v38, 0xbe750f2a, v33
	v_mov_b32_e32 v90, v39
	v_fma_f32 v39, v30, s19, -v38
	v_add_f32_e32 v39, v39, v47
	v_mul_f32_e32 v47, 0xbe750f2a, v32
	v_fmac_f32_e32 v38, 0xbf788fa5, v30
	v_add_f32_e32 v38, v38, v42
	v_fma_f32 v42, v31, s19, -v47
	v_fmac_f32_e32 v90, 0x3df6dbef, v31
	v_add_f32_e32 v42, v42, v46
	v_mul_f32_e32 v46, 0x3f6f5d39, v33
	v_add_f32_e32 v43, v90, v43
	v_mov_b32_e32 v90, v47
	v_fma_f32 v47, v30, s17, -v46
	v_add_f32_e32 v47, v47, v79
	v_mul_f32_e32 v79, 0x3f6f5d39, v32
	v_fmac_f32_e32 v46, 0xbeb58ec6, v30
	v_add_f32_e32 v46, v46, v48
	v_fma_f32 v48, v31, s17, -v79
	v_fmac_f32_e32 v90, 0xbf788fa5, v31
	v_add_f32_e32 v48, v48, v78
	v_mul_f32_e32 v78, 0x3eedf032, v33
	v_add_f32_e32 v49, v90, v49
	v_mov_b32_e32 v90, v79
	v_fma_f32 v79, v30, s16, -v78
	v_fmac_f32_e32 v90, 0xbeb58ec6, v31
	v_add_f32_e32 v79, v79, v82
	v_mul_f32_e32 v82, 0x3eedf032, v32
	v_fmac_f32_e32 v78, 0x3f62ad3f, v30
	v_add_f32_e32 v81, v90, v81
	v_mov_b32_e32 v90, v82
	v_add_f32_e32 v78, v78, v80
	v_fma_f32 v80, v31, s16, -v82
	v_mul_f32_e32 v82, 0xbf52af12, v33
	v_fma_f32 v91, v30, s7, -v82
	v_fmac_f32_e32 v82, 0x3f116cb1, v30
	v_mul_f32_e32 v33, 0xbf29c268, v33
	v_add_f32_e32 v80, v80, v92
	v_mul_f32_e32 v92, 0xbf52af12, v32
	v_add_f32_e32 v82, v82, v94
	v_fma_f32 v94, v30, s18, -v33
	v_mul_f32_e32 v32, 0xbf29c268, v32
	v_fmac_f32_e32 v33, 0xbf3f9e67, v30
	v_fmac_f32_e32 v90, 0x3f62ad3f, v31
	v_add_f32_e32 v24, v33, v24
	v_fma_f32 v30, v31, s18, -v32
	v_sub_f32_e32 v33, v40, v89
	v_add_f32_e32 v90, v90, v93
	v_add_f32_e32 v91, v91, v95
	v_mov_b32_e32 v93, v92
	v_mov_b32_e32 v95, v32
	v_add_f32_e32 v25, v30, v25
	v_add_f32_e32 v30, v37, v88
	v_sub_f32_e32 v32, v37, v88
	v_mul_f32_e32 v37, 0xbf6f5d39, v33
	v_fmac_f32_e32 v93, 0x3f116cb1, v31
	v_fma_f32 v92, v31, s7, -v92
	v_fmac_f32_e32 v95, 0xbf3f9e67, v31
	v_add_f32_e32 v31, v40, v89
	v_fma_f32 v40, v30, s17, -v37
	v_add_f32_e32 v36, v40, v36
	v_mul_f32_e32 v40, 0xbf6f5d39, v32
	v_fmac_f32_e32 v37, 0xbeb58ec6, v30
	v_add_f32_e32 v34, v37, v34
	v_fma_f32 v37, v31, s17, -v40
	v_add_f32_e32 v35, v37, v35
	v_mul_f32_e32 v37, 0x3f29c268, v33
	v_mov_b32_e32 v88, v40
	v_fma_f32 v40, v30, s18, -v37
	v_fmac_f32_e32 v88, 0xbeb58ec6, v31
	v_add_f32_e32 v39, v40, v39
	v_mul_f32_e32 v40, 0x3f29c268, v32
	v_fmac_f32_e32 v37, 0xbf3f9e67, v30
	v_add_f32_e32 v43, v88, v43
	v_mov_b32_e32 v88, v40
	v_add_f32_e32 v37, v37, v38
	v_fma_f32 v38, v31, s18, -v40
	v_mul_f32_e32 v40, 0x3eedf032, v33
	v_add_f32_e32 v38, v38, v42
	v_fma_f32 v42, v30, s16, -v40
	v_fmac_f32_e32 v88, 0xbf3f9e67, v31
	v_add_f32_e32 v42, v42, v47
	v_mul_f32_e32 v47, 0x3eedf032, v32
	v_fmac_f32_e32 v40, 0x3f62ad3f, v30
	v_add_f32_e32 v49, v88, v49
	v_mov_b32_e32 v88, v47
	v_add_f32_e32 v40, v40, v46
	v_fma_f32 v46, v31, s16, -v47
	v_mul_f32_e32 v47, 0xbf7e222b, v33
	v_add_f32_e32 v46, v46, v48
	v_fma_f32 v48, v30, s6, -v47
	v_fmac_f32_e32 v88, 0x3f62ad3f, v31
	v_add_f32_e32 v48, v48, v79
	v_mul_f32_e32 v79, 0xbf7e222b, v32
	v_fmac_f32_e32 v47, 0x3df6dbef, v30
	v_add_f32_e32 v81, v88, v81
	v_mov_b32_e32 v88, v79
	v_add_f32_e32 v47, v47, v78
	v_fma_f32 v78, v31, s6, -v79
	v_mul_f32_e32 v79, 0x3e750f2a, v33
	v_fmac_f32_e32 v88, 0x3df6dbef, v31
	v_add_f32_e32 v78, v78, v80
	v_fma_f32 v80, v30, s19, -v79
	v_mul_f32_e32 v89, 0x3e750f2a, v32
	v_fmac_f32_e32 v79, 0xbf788fa5, v30
	v_mul_f32_e32 v33, 0x3f52af12, v33
	v_add_f32_e32 v88, v88, v90
	v_mov_b32_e32 v90, v89
	v_add_f32_e32 v79, v79, v82
	v_fma_f32 v82, v31, s19, -v89
	v_fma_f32 v89, v30, s7, -v33
	v_mul_f32_e32 v32, 0x3f52af12, v32
	v_fmac_f32_e32 v33, 0x3f116cb1, v30
	v_add_f32_e32 v24, v33, v24
	v_fma_f32 v30, v31, s7, -v32
	v_sub_f32_e32 v33, v44, v87
	v_add_f32_e32 v80, v80, v91
	v_mov_b32_e32 v91, v32
	v_add_f32_e32 v25, v30, v25
	v_add_f32_e32 v30, v41, v86
	v_sub_f32_e32 v32, v41, v86
	v_mul_f32_e32 v41, 0xbf29c268, v33
	v_fmac_f32_e32 v90, 0xbf788fa5, v31
	v_fmac_f32_e32 v91, 0x3f116cb1, v31
	v_add_f32_e32 v31, v44, v87
	v_fma_f32 v44, v30, s18, -v41
	v_add_f32_e32 v36, v44, v36
	v_mul_f32_e32 v44, 0xbf29c268, v32
	v_fmac_f32_e32 v41, 0xbf3f9e67, v30
	v_add_f32_e32 v34, v41, v34
	v_fma_f32 v41, v31, s18, -v44
	v_add_f32_e32 v35, v41, v35
	v_mul_f32_e32 v41, 0x3f7e222b, v33
	v_mov_b32_e32 v86, v44
	v_fma_f32 v44, v30, s6, -v41
	v_add_f32_e32 v39, v44, v39
	v_mul_f32_e32 v44, 0x3f7e222b, v32
	v_fmac_f32_e32 v41, 0x3df6dbef, v30
	v_add_f32_e32 v41, v41, v37
	v_fma_f32 v37, v31, s6, -v44
	v_fmac_f32_e32 v86, 0xbf3f9e67, v31
	v_add_f32_e32 v38, v37, v38
	v_mul_f32_e32 v37, 0xbf52af12, v33
	v_add_f32_e32 v43, v86, v43
	v_mov_b32_e32 v86, v44
	v_fma_f32 v44, v30, s7, -v37
	v_add_f32_e32 v42, v44, v42
	v_mul_f32_e32 v44, 0xbf52af12, v32
	v_fmac_f32_e32 v37, 0x3f116cb1, v30
	v_fmac_f32_e32 v86, 0x3df6dbef, v31
	v_add_f32_e32 v40, v37, v40
	v_fma_f32 v37, v31, s7, -v44
	v_add_f32_e32 v49, v86, v49
	v_mov_b32_e32 v86, v44
	v_add_f32_e32 v44, v37, v46
	v_mul_f32_e32 v37, 0x3e750f2a, v33
	v_fma_f32 v46, v30, s19, -v37
	v_add_f32_e32 v46, v46, v48
	v_mul_f32_e32 v48, 0x3e750f2a, v32
	v_fmac_f32_e32 v37, 0xbf788fa5, v30
	v_fmac_f32_e32 v86, 0x3f116cb1, v31
	v_add_f32_e32 v47, v37, v47
	v_fma_f32 v37, v31, s19, -v48
	v_add_f32_e32 v81, v86, v81
	v_mov_b32_e32 v86, v48
	v_add_f32_e32 v48, v37, v78
	v_mul_f32_e32 v37, 0x3eedf032, v33
	v_add_f32_e32 v96, v96, v103
	v_fma_f32 v78, v30, s16, -v37
	v_add_f32_e32 v101, v101, v105
	v_add_f32_e32 v92, v92, v96
	;; [unrolled: 1-line block ×3, first 2 shown]
	v_mul_f32_e32 v80, 0x3eedf032, v32
	v_fmac_f32_e32 v37, 0x3f62ad3f, v30
	v_add_f32_e32 v94, v94, v101
	v_add_f32_e32 v82, v82, v92
	;; [unrolled: 1-line block ×3, first 2 shown]
	v_fma_f32 v37, v31, s16, -v80
	v_mul_f32_e32 v33, 0xbf6f5d39, v33
	v_add_f32_e32 v97, v97, v104
	v_add_f32_e32 v102, v102, v106
	;; [unrolled: 1-line block ×3, first 2 shown]
	v_mov_b32_e32 v87, v80
	v_add_f32_e32 v80, v37, v82
	v_fma_f32 v37, v30, s17, -v33
	v_mul_f32_e32 v32, 0xbf6f5d39, v32
	v_add_f32_e32 v93, v93, v97
	v_add_f32_e32 v95, v95, v102
	;; [unrolled: 1-line block ×3, first 2 shown]
	v_mov_b32_e32 v37, v32
	v_fmac_f32_e32 v33, 0xbeb58ec6, v30
	v_add_f32_e32 v90, v90, v93
	v_add_f32_e32 v91, v91, v95
	v_fmac_f32_e32 v86, 0xbf788fa5, v31
	v_fmac_f32_e32 v87, 0x3f62ad3f, v31
	;; [unrolled: 1-line block ×3, first 2 shown]
	v_add_f32_e32 v89, v33, v24
	v_fma_f32 v24, v31, s17, -v32
	v_add_f32_e32 v92, v83, v85
	v_sub_f32_e32 v83, v83, v85
	v_add_f32_e32 v86, v86, v88
	v_add_f32_e32 v87, v87, v90
	;; [unrolled: 1-line block ×5, first 2 shown]
	v_mul_f32_e32 v24, 0xbe750f2a, v83
	v_sub_f32_e32 v84, v45, v84
	v_fma_f32 v25, v91, s19, -v24
	v_add_f32_e32 v32, v25, v36
	v_mul_f32_e32 v25, 0xbe750f2a, v84
	v_mov_b32_e32 v30, v25
	v_fmac_f32_e32 v30, 0xbf788fa5, v92
	v_add_f32_e32 v33, v30, v43
	v_mul_f32_e32 v30, 0x3eedf032, v83
	v_fma_f32 v31, v91, s16, -v30
	v_fmac_f32_e32 v24, 0xbf788fa5, v91
	v_add_f32_e32 v36, v31, v39
	v_mul_f32_e32 v31, 0x3eedf032, v84
	v_add_f32_e32 v24, v24, v34
	v_mov_b32_e32 v34, v31
	v_fmac_f32_e32 v34, 0x3f62ad3f, v92
	v_fma_f32 v25, v92, s19, -v25
	v_add_f32_e32 v37, v34, v49
	v_mul_f32_e32 v34, 0xbf29c268, v83
	v_add_f32_e32 v25, v25, v35
	v_fma_f32 v31, v92, s16, -v31
	v_fma_f32 v35, v91, s18, -v34
	v_add_f32_e32 v31, v31, v38
	v_add_f32_e32 v38, v35, v42
	v_mul_f32_e32 v35, 0xbf29c268, v84
	v_mov_b32_e32 v39, v35
	v_fmac_f32_e32 v34, 0xbf3f9e67, v91
	v_fma_f32 v35, v92, s18, -v35
	v_fmac_f32_e32 v30, 0x3f62ad3f, v91
	v_add_f32_e32 v34, v34, v40
	v_add_f32_e32 v35, v35, v44
	v_mul_f32_e32 v40, 0x3f52af12, v83
	v_mul_f32_e32 v44, 0xbf6f5d39, v83
	v_add_f32_e32 v30, v30, v41
	v_fma_f32 v41, v91, s7, -v40
	v_fma_f32 v45, v91, s17, -v44
	v_add_f32_e32 v42, v41, v46
	v_fmac_f32_e32 v40, 0x3f116cb1, v91
	v_add_f32_e32 v46, v45, v78
	v_mul_f32_e32 v45, 0xbf6f5d39, v84
	v_add_f32_e32 v40, v40, v47
	v_mov_b32_e32 v47, v45
	v_fma_f32 v45, v92, s17, -v45
	v_fmac_f32_e32 v39, 0xbf3f9e67, v92
	v_add_f32_e32 v45, v45, v80
	v_add_f32_e32 v80, v26, v74
	;; [unrolled: 1-line block ×15, first 2 shown]
	v_mul_f32_e32 v41, 0x3f52af12, v84
	v_fmac_f32_e32 v44, 0xbeb58ec6, v91
	v_add_f32_e32 v81, v81, v55
	v_add_f32_e32 v80, v80, v58
	v_mov_b32_e32 v43, v41
	v_fma_f32 v41, v92, s7, -v41
	v_add_f32_e32 v44, v44, v79
	v_mul_f32_e32 v78, 0x3f7e222b, v83
	v_mul_f32_e32 v79, 0x3f7e222b, v84
	v_add_f32_e32 v81, v81, v59
	v_add_f32_e32 v80, v80, v62
	;; [unrolled: 1-line block ×3, first 2 shown]
	v_fma_f32 v48, v91, s6, -v78
	v_mov_b32_e32 v49, v79
	v_add_f32_e32 v81, v81, v63
	v_add_f32_e32 v80, v80, v66
	v_fmac_f32_e32 v43, 0x3f116cb1, v92
	v_add_f32_e32 v48, v48, v82
	v_fmac_f32_e32 v49, 0x3df6dbef, v92
	v_fma_f32 v79, v92, s6, -v79
	v_add_f32_e32 v81, v81, v67
	v_add_f32_e32 v80, v80, v72
	;; [unrolled: 1-line block ×4, first 2 shown]
	v_sub_f32_e32 v74, v74, v76
	v_sub_f32_e32 v75, v75, v77
	v_add_f32_e32 v43, v43, v86
	v_fmac_f32_e32 v47, 0xbeb58ec6, v92
	v_add_f32_e32 v49, v49, v88
	v_fmac_f32_e32 v78, 0x3df6dbef, v91
	v_add_f32_e32 v79, v79, v90
	v_add_f32_e32 v81, v81, v73
	v_add_f32_e32 v80, v80, v76
	v_mul_f32_e32 v76, 0xbeedf032, v75
	v_mul_f32_e32 v84, 0xbeedf032, v74
	;; [unrolled: 1-line block ×12, first 2 shown]
	v_add_f32_e32 v47, v47, v87
	v_add_f32_e32 v78, v78, v89
	;; [unrolled: 1-line block ×3, first 2 shown]
	v_fma_f32 v77, v82, s16, -v76
	v_mov_b32_e32 v85, v84
	v_fmac_f32_e32 v76, 0x3f62ad3f, v82
	v_fma_f32 v87, v82, s7, -v86
	v_mov_b32_e32 v89, v88
	v_fmac_f32_e32 v86, 0x3f116cb1, v82
	;; [unrolled: 3-line block ×6, first 2 shown]
	v_add_f32_e32 v77, v26, v77
	v_fmac_f32_e32 v85, 0x3f62ad3f, v83
	v_add_f32_e32 v76, v26, v76
	v_fma_f32 v84, v83, s16, -v84
	v_add_f32_e32 v87, v26, v87
	v_fmac_f32_e32 v89, 0x3f116cb1, v83
	v_add_f32_e32 v86, v26, v86
	v_fma_f32 v88, v83, s7, -v88
	;; [unrolled: 4-line block ×6, first 2 shown]
	v_add_f32_e32 v75, v71, v73
	v_sub_f32_e32 v71, v71, v73
	v_add_f32_e32 v85, v27, v85
	v_add_f32_e32 v84, v27, v84
	;; [unrolled: 1-line block ×13, first 2 shown]
	v_sub_f32_e32 v70, v70, v72
	v_mul_f32_e32 v72, 0xbf52af12, v71
	v_fma_f32 v73, v74, s7, -v72
	v_add_f32_e32 v73, v73, v77
	v_mul_f32_e32 v77, 0xbf52af12, v70
	v_fmac_f32_e32 v72, 0x3f116cb1, v74
	v_mov_b32_e32 v82, v77
	v_add_f32_e32 v72, v72, v76
	v_fma_f32 v76, v75, s7, -v77
	v_mul_f32_e32 v77, 0xbf6f5d39, v71
	v_fma_f32 v83, v74, s17, -v77
	v_fmac_f32_e32 v77, 0xbeb58ec6, v74
	v_fmac_f32_e32 v82, 0x3f116cb1, v75
	v_add_f32_e32 v76, v76, v84
	v_mul_f32_e32 v84, 0xbf6f5d39, v70
	v_add_f32_e32 v77, v77, v86
	v_mul_f32_e32 v86, 0xbe750f2a, v71
	v_add_f32_e32 v82, v82, v85
	v_add_f32_e32 v83, v83, v87
	v_mov_b32_e32 v85, v84
	v_fma_f32 v84, v75, s17, -v84
	v_fma_f32 v87, v74, s19, -v86
	v_fmac_f32_e32 v86, 0xbf788fa5, v74
	v_fmac_f32_e32 v85, 0xbeb58ec6, v75
	v_add_f32_e32 v84, v84, v88
	v_mul_f32_e32 v88, 0xbe750f2a, v70
	v_add_f32_e32 v86, v86, v90
	v_mul_f32_e32 v90, 0x3f29c268, v71
	v_add_f32_e32 v85, v85, v89
	v_add_f32_e32 v87, v87, v91
	v_mov_b32_e32 v89, v88
	v_fma_f32 v88, v75, s19, -v88
	;; [unrolled: 11-line block ×3, first 2 shown]
	v_fma_f32 v95, v74, s6, -v94
	v_fmac_f32_e32 v94, 0x3df6dbef, v74
	v_mul_f32_e32 v71, 0x3eedf032, v71
	v_add_f32_e32 v92, v92, v96
	v_mul_f32_e32 v96, 0x3f7e222b, v70
	v_add_f32_e32 v94, v94, v101
	v_fma_f32 v101, v74, s16, -v71
	v_mul_f32_e32 v70, 0x3eedf032, v70
	v_fmac_f32_e32 v71, 0x3f62ad3f, v74
	v_add_f32_e32 v95, v95, v102
	v_mov_b32_e32 v102, v70
	v_add_f32_e32 v26, v71, v26
	v_fma_f32 v70, v75, s16, -v70
	v_add_f32_e32 v71, v65, v67
	v_sub_f32_e32 v65, v65, v67
	v_add_f32_e32 v27, v70, v27
	v_add_f32_e32 v70, v64, v66
	v_sub_f32_e32 v64, v64, v66
	v_mul_f32_e32 v66, 0xbf7e222b, v65
	v_fma_f32 v67, v70, s6, -v66
	v_fmac_f32_e32 v93, 0xbf3f9e67, v75
	v_add_f32_e32 v67, v67, v73
	v_mul_f32_e32 v73, 0xbf7e222b, v64
	v_fmac_f32_e32 v66, 0x3df6dbef, v70
	v_add_f32_e32 v93, v93, v97
	v_mov_b32_e32 v97, v96
	v_mov_b32_e32 v74, v73
	v_add_f32_e32 v66, v66, v72
	v_fma_f32 v72, v71, s6, -v73
	v_mul_f32_e32 v73, 0xbe750f2a, v65
	v_fmac_f32_e32 v97, 0x3df6dbef, v75
	v_fma_f32 v96, v75, s6, -v96
	v_fmac_f32_e32 v102, 0x3f62ad3f, v75
	v_fma_f32 v75, v70, s19, -v73
	v_fmac_f32_e32 v73, 0xbf788fa5, v70
	v_fmac_f32_e32 v74, 0x3df6dbef, v71
	v_add_f32_e32 v72, v72, v76
	v_mul_f32_e32 v76, 0xbe750f2a, v64
	v_add_f32_e32 v73, v73, v77
	v_mul_f32_e32 v77, 0x3f6f5d39, v65
	v_add_f32_e32 v74, v74, v82
	v_add_f32_e32 v75, v75, v83
	v_mov_b32_e32 v82, v76
	v_fma_f32 v76, v71, s19, -v76
	v_fma_f32 v83, v70, s17, -v77
	v_fmac_f32_e32 v77, 0xbeb58ec6, v70
	v_fmac_f32_e32 v82, 0xbf788fa5, v71
	v_add_f32_e32 v76, v76, v84
	v_mul_f32_e32 v84, 0x3f6f5d39, v64
	v_add_f32_e32 v77, v77, v86
	v_mul_f32_e32 v86, 0x3eedf032, v65
	v_add_f32_e32 v82, v82, v85
	v_add_f32_e32 v83, v83, v87
	v_mov_b32_e32 v85, v84
	v_fma_f32 v84, v71, s17, -v84
	;; [unrolled: 11-line block ×3, first 2 shown]
	v_fma_f32 v91, v70, s7, -v90
	v_fmac_f32_e32 v90, 0x3f116cb1, v70
	v_mul_f32_e32 v65, 0xbf29c268, v65
	v_add_f32_e32 v88, v88, v92
	v_mul_f32_e32 v92, 0xbf52af12, v64
	v_add_f32_e32 v90, v90, v94
	v_fma_f32 v94, v70, s18, -v65
	v_mul_f32_e32 v64, 0xbf29c268, v64
	v_fmac_f32_e32 v65, 0xbf3f9e67, v70
	v_add_f32_e32 v91, v91, v95
	v_mov_b32_e32 v95, v64
	v_add_f32_e32 v26, v65, v26
	v_fma_f32 v64, v71, s18, -v64
	v_add_f32_e32 v65, v61, v63
	v_sub_f32_e32 v61, v61, v63
	v_add_f32_e32 v27, v64, v27
	v_add_f32_e32 v64, v60, v62
	v_sub_f32_e32 v60, v60, v62
	v_mul_f32_e32 v62, 0xbf6f5d39, v61
	v_fma_f32 v63, v64, s17, -v62
	v_fmac_f32_e32 v89, 0x3f62ad3f, v71
	v_add_f32_e32 v63, v63, v67
	v_mul_f32_e32 v67, 0xbf6f5d39, v60
	v_fmac_f32_e32 v62, 0xbeb58ec6, v64
	v_add_f32_e32 v89, v89, v93
	v_mov_b32_e32 v93, v92
	v_mov_b32_e32 v70, v67
	v_add_f32_e32 v62, v62, v66
	v_fma_f32 v66, v65, s17, -v67
	v_mul_f32_e32 v67, 0x3f29c268, v61
	v_fmac_f32_e32 v93, 0x3f116cb1, v71
	v_fma_f32 v92, v71, s7, -v92
	v_fmac_f32_e32 v95, 0xbf3f9e67, v71
	v_fma_f32 v71, v64, s18, -v67
	v_fmac_f32_e32 v67, 0xbf3f9e67, v64
	v_fmac_f32_e32 v70, 0xbeb58ec6, v65
	v_add_f32_e32 v66, v66, v72
	v_mul_f32_e32 v72, 0x3f29c268, v60
	v_add_f32_e32 v67, v67, v73
	v_mul_f32_e32 v73, 0x3eedf032, v61
	v_add_f32_e32 v70, v70, v74
	v_add_f32_e32 v71, v71, v75
	v_mov_b32_e32 v74, v72
	v_fma_f32 v72, v65, s18, -v72
	v_fma_f32 v75, v64, s16, -v73
	v_fmac_f32_e32 v73, 0x3f62ad3f, v64
	v_fmac_f32_e32 v74, 0xbf3f9e67, v65
	v_add_f32_e32 v72, v72, v76
	v_mul_f32_e32 v76, 0x3eedf032, v60
	v_add_f32_e32 v73, v73, v77
	v_mul_f32_e32 v77, 0xbf7e222b, v61
	v_add_f32_e32 v74, v74, v82
	v_add_f32_e32 v75, v75, v83
	v_mov_b32_e32 v82, v76
	v_fma_f32 v76, v65, s16, -v76
	;; [unrolled: 11-line block ×3, first 2 shown]
	v_fma_f32 v87, v64, s19, -v86
	v_fmac_f32_e32 v86, 0xbf788fa5, v64
	v_mul_f32_e32 v61, 0x3f52af12, v61
	v_add_f32_e32 v84, v84, v88
	v_mul_f32_e32 v88, 0x3e750f2a, v60
	v_add_f32_e32 v86, v86, v90
	v_fma_f32 v90, v64, s7, -v61
	v_mul_f32_e32 v60, 0x3f52af12, v60
	v_fmac_f32_e32 v61, 0x3f116cb1, v64
	v_add_f32_e32 v87, v87, v91
	v_mov_b32_e32 v91, v60
	v_add_f32_e32 v26, v61, v26
	v_fma_f32 v60, v65, s7, -v60
	v_add_f32_e32 v61, v57, v59
	v_sub_f32_e32 v57, v57, v59
	v_add_f32_e32 v27, v60, v27
	v_add_f32_e32 v60, v56, v58
	v_sub_f32_e32 v56, v56, v58
	v_mul_f32_e32 v58, 0xbf29c268, v57
	v_fma_f32 v59, v60, s18, -v58
	v_fmac_f32_e32 v85, 0x3df6dbef, v65
	v_add_f32_e32 v59, v59, v63
	v_mul_f32_e32 v63, 0xbf29c268, v56
	v_fmac_f32_e32 v58, 0xbf3f9e67, v60
	v_add_f32_e32 v85, v85, v89
	v_mov_b32_e32 v89, v88
	v_mov_b32_e32 v64, v63
	v_add_f32_e32 v58, v58, v62
	v_fma_f32 v62, v61, s18, -v63
	v_mul_f32_e32 v63, 0x3f7e222b, v57
	v_fmac_f32_e32 v89, 0xbf788fa5, v65
	v_fma_f32 v88, v65, s19, -v88
	v_fmac_f32_e32 v91, 0x3f116cb1, v65
	v_fmac_f32_e32 v64, 0xbf3f9e67, v61
	v_add_f32_e32 v62, v62, v66
	v_fma_f32 v65, v60, s6, -v63
	v_mul_f32_e32 v66, 0x3f7e222b, v56
	v_fmac_f32_e32 v63, 0x3df6dbef, v60
	v_add_f32_e32 v64, v64, v70
	v_mov_b32_e32 v70, v66
	v_add_f32_e32 v63, v63, v67
	v_fma_f32 v66, v61, s6, -v66
	v_mul_f32_e32 v67, 0xbf52af12, v57
	v_add_f32_e32 v65, v65, v71
	v_fmac_f32_e32 v70, 0x3df6dbef, v61
	v_add_f32_e32 v66, v66, v72
	v_fma_f32 v71, v60, s7, -v67
	v_mul_f32_e32 v72, 0xbf52af12, v56
	v_fmac_f32_e32 v67, 0x3f116cb1, v60
	v_add_f32_e32 v70, v70, v74
	v_mov_b32_e32 v74, v72
	v_add_f32_e32 v67, v67, v73
	v_fma_f32 v72, v61, s7, -v72
	v_mul_f32_e32 v73, 0x3e750f2a, v57
	v_add_f32_e32 v71, v71, v75
	v_fmac_f32_e32 v74, 0x3f116cb1, v61
	v_add_f32_e32 v72, v72, v76
	v_fma_f32 v75, v60, s19, -v73
	v_mul_f32_e32 v76, 0x3e750f2a, v56
	v_fmac_f32_e32 v73, 0xbf788fa5, v60
	v_add_f32_e32 v97, v97, v104
	v_add_f32_e32 v96, v96, v103
	;; [unrolled: 1-line block ×4, first 2 shown]
	v_mov_b32_e32 v82, v76
	v_add_f32_e32 v73, v73, v77
	v_fma_f32 v76, v61, s19, -v76
	v_mul_f32_e32 v77, 0x3eedf032, v57
	v_add_f32_e32 v93, v93, v97
	v_add_f32_e32 v92, v92, v96
	;; [unrolled: 1-line block ×4, first 2 shown]
	v_fmac_f32_e32 v82, 0xbf788fa5, v61
	v_add_f32_e32 v76, v76, v84
	v_fma_f32 v83, v60, s16, -v77
	v_mul_f32_e32 v84, 0x3eedf032, v56
	v_fmac_f32_e32 v77, 0x3f62ad3f, v60
	v_mul_f32_e32 v57, 0xbf6f5d39, v57
	v_add_f32_e32 v102, v102, v106
	v_add_f32_e32 v89, v89, v93
	;; [unrolled: 1-line block ×5, first 2 shown]
	v_mov_b32_e32 v85, v84
	v_add_f32_e32 v77, v77, v86
	v_fma_f32 v84, v61, s16, -v84
	v_fma_f32 v86, v60, s17, -v57
	v_mul_f32_e32 v56, 0xbf6f5d39, v56
	v_fmac_f32_e32 v57, 0xbeb58ec6, v60
	v_sub_f32_e32 v93, v53, v55
	v_add_f32_e32 v95, v95, v102
	v_add_f32_e32 v83, v83, v87
	;; [unrolled: 1-line block ×4, first 2 shown]
	v_mov_b32_e32 v87, v56
	v_add_f32_e32 v88, v57, v26
	v_fma_f32 v26, v61, s17, -v56
	v_add_f32_e32 v90, v52, v54
	v_mul_f32_e32 v56, 0x3eedf032, v93
	v_add_f32_e32 v91, v91, v95
	v_fmac_f32_e32 v87, 0xbeb58ec6, v61
	v_sub_f32_e32 v92, v52, v54
	v_fma_f32 v54, v90, s16, -v56
	v_add_f32_e32 v87, v87, v91
	v_add_f32_e32 v91, v53, v55
	;; [unrolled: 1-line block ×3, first 2 shown]
	v_fmac_f32_e32 v56, 0x3f62ad3f, v90
	v_mul_f32_e32 v65, 0x3f52af12, v92
	v_add_f32_e32 v56, v56, v63
	v_mov_b32_e32 v63, v65
	v_fma_f32 v65, v91, s7, -v65
	v_fmac_f32_e32 v85, 0x3f62ad3f, v61
	v_mul_f32_e32 v53, 0xbe750f2a, v92
	v_add_f32_e32 v65, v65, v76
	v_lshrrev_b32_e32 v76, 1, v225
	v_add_f32_e32 v85, v85, v89
	v_add_f32_e32 v89, v26, v27
	v_mov_b32_e32 v27, v53
	v_mul_u32_u24_e32 v76, 26, v76
	v_mul_f32_e32 v52, 0xbe750f2a, v93
	v_fmac_f32_e32 v27, 0xbf788fa5, v91
	v_or_b32_e32 v76, v76, v51
	v_fma_f32 v26, v90, s19, -v52
	v_add_f32_e32 v27, v27, v64
	v_fmac_f32_e32 v52, 0xbf788fa5, v90
	v_fma_f32 v53, v91, s19, -v53
	v_mul_f32_e32 v57, 0x3eedf032, v92
	v_mul_f32_e32 v60, 0xbf29c268, v93
	;; [unrolled: 1-line block ×4, first 2 shown]
	v_lshlrev_b32_e32 v226, 3, v76
	v_add_f32_e32 v26, v26, v59
	v_add_f32_e32 v52, v52, v58
	;; [unrolled: 1-line block ×3, first 2 shown]
	v_mov_b32_e32 v55, v57
	v_fma_f32 v58, v90, s18, -v60
	v_mov_b32_e32 v59, v61
	v_fma_f32 v62, v90, s7, -v64
	ds_write2_b64 v226, v[28:29], v[32:33] offset1:2
	ds_write2_b64 v226, v[36:37], v[38:39] offset0:4 offset1:6
	ds_write2_b64 v226, v[42:43], v[46:47] offset0:8 offset1:10
	;; [unrolled: 1-line block ×5, first 2 shown]
	ds_write_b64 v226, v[24:25] offset:192
	v_lshrrev_b32_e32 v24, 1, v50
	v_fmac_f32_e32 v55, 0x3f62ad3f, v91
	v_add_f32_e32 v58, v58, v71
	v_fmac_f32_e32 v59, 0xbf3f9e67, v91
	v_fmac_f32_e32 v60, 0xbf3f9e67, v90
	v_add_f32_e32 v62, v62, v75
	v_fmac_f32_e32 v64, 0x3f116cb1, v90
	v_mul_f32_e32 v71, 0xbf6f5d39, v92
	v_mul_f32_e32 v75, 0x3f7e222b, v92
	v_mul_u32_u24_e32 v24, 26, v24
	v_add_f32_e32 v55, v55, v70
	v_fma_f32 v57, v91, s16, -v57
	v_add_f32_e32 v59, v59, v74
	v_add_f32_e32 v60, v60, v67
	v_fma_f32 v61, v91, s18, -v61
	v_add_f32_e32 v64, v64, v73
	v_mul_f32_e32 v70, 0xbf6f5d39, v93
	v_mov_b32_e32 v67, v71
	v_mul_f32_e32 v74, 0x3f7e222b, v93
	v_mov_b32_e32 v73, v75
	v_or_b32_e32 v24, v24, v51
	v_cndmask_b32_e32 v101, v201, v225, vcc
	v_add_f32_e32 v57, v57, v66
	v_add_f32_e32 v61, v61, v72
	v_fmac_f32_e32 v63, 0x3f116cb1, v91
	v_fma_f32 v66, v90, s17, -v70
	v_fmac_f32_e32 v67, 0xbeb58ec6, v91
	v_fmac_f32_e32 v70, 0xbeb58ec6, v90
	v_fma_f32 v71, v91, s17, -v71
	v_fma_f32 v72, v90, s6, -v74
	v_fmac_f32_e32 v73, 0x3df6dbef, v91
	v_fmac_f32_e32 v74, 0x3df6dbef, v90
	v_fma_f32 v75, v91, s6, -v75
	v_lshlrev_b32_e32 v227, 3, v24
	v_mul_i32_i24_e32 v25, 0x60, v101
	v_add_f32_e32 v63, v63, v82
	v_add_f32_e32 v66, v66, v83
	;; [unrolled: 1-line block ×9, first 2 shown]
	ds_write2_b64 v227, v[80:81], v[26:27] offset1:2
	ds_write2_b64 v227, v[54:55], v[58:59] offset0:4 offset1:6
	ds_write2_b64 v227, v[62:63], v[66:67] offset0:8 offset1:10
	;; [unrolled: 1-line block ×5, first 2 shown]
	ds_write_b64 v227, v[52:53] offset:192
	v_mul_hi_i32_i24_e32 v24, 0x60, v101
	v_mov_b32_e32 v26, s15
	v_add_co_u32_e64 v36, s[0:1], s14, v25
	v_addc_co_u32_e64 v37, s[0:1], v26, v24, s[0:1]
	s_movk_i32 s1, 0x4f
	s_waitcnt lgkmcnt(0)
	; wave barrier
	s_waitcnt lgkmcnt(0)
	global_load_dwordx4 v[44:47], v[36:37], off offset:192
	global_load_dwordx4 v[32:35], v[36:37], off offset:208
	;; [unrolled: 1-line block ×6, first 2 shown]
	v_mul_lo_u16_sdwa v36, v50, s1 dst_sel:DWORD dst_unused:UNUSED_PAD src0_sel:BYTE_0 src1_sel:DWORD
	v_lshrrev_b16_e32 v102, 11, v36
	v_mul_lo_u16_e32 v36, 26, v102
	v_sub_u16_e32 v36, v50, v36
	v_and_b32_e32 v103, 0xff, v36
	v_mov_b32_e32 v37, s15
	s_movk_i32 s0, 0x60
	v_mov_b32_e32 v36, s14
	v_mad_u64_u32 v[72:73], s[0:1], v103, s0, v[36:37]
	global_load_dwordx4 v[64:67], v[72:73], off offset:192
	global_load_dwordx4 v[60:63], v[72:73], off offset:208
	;; [unrolled: 1-line block ×4, first 2 shown]
	ds_read2_b64 v[48:51], v223 offset1:52
	ds_read2_b64 v[76:79], v223 offset0:104 offset1:156
	ds_read2_b64 v[80:83], v99 offset0:80 offset1:132
	;; [unrolled: 1-line block ×12, first 2 shown]
	global_load_dwordx4 v[68:71], v[72:73], off offset:272
	s_nop 0
	global_load_dwordx4 v[72:75], v[72:73], off offset:256
	v_cmp_lt_u16_e64 s[0:1], 25, v225
	s_waitcnt lgkmcnt(0)
	; wave barrier
	s_waitcnt vmcnt(11) lgkmcnt(0)
	v_mul_f32_e32 v96, v77, v45
	v_fma_f32 v96, v76, v44, -v96
	v_mul_f32_e32 v97, v76, v45
	v_mul_f32_e32 v76, v81, v47
	v_fma_f32 v134, v80, v46, -v76
	v_mul_f32_e32 v80, v80, v47
	s_waitcnt vmcnt(10)
	v_mul_f32_e32 v76, v85, v33
	v_fmac_f32_e32 v80, v81, v46
	v_fma_f32 v81, v84, v32, -v76
	v_mul_f32_e32 v84, v84, v33
	v_mul_f32_e32 v76, v89, v35
	v_fmac_f32_e32 v84, v85, v32
	v_fma_f32 v85, v88, v34, -v76
	v_mul_f32_e32 v88, v88, v35
	s_waitcnt vmcnt(9)
	v_mul_f32_e32 v76, v93, v29
	v_fmac_f32_e32 v88, v89, v34
	v_fma_f32 v89, v92, v28, -v76
	v_mul_f32_e32 v92, v92, v29
	v_mul_f32_e32 v76, v105, v31
	v_fmac_f32_e32 v92, v93, v28
	v_fma_f32 v93, v104, v30, -v76
	s_waitcnt vmcnt(8)
	v_mul_f32_e32 v76, v109, v25
	v_fma_f32 v136, v108, v24, -v76
	v_mul_f32_e32 v76, v115, v27
	v_fma_f32 v138, v114, v26, -v76
	s_waitcnt vmcnt(7)
	v_mul_f32_e32 v76, v119, v53
	v_fma_f32 v140, v118, v52, -v76
	v_mul_f32_e32 v76, v123, v55
	;; [unrolled: 5-line block ×3, first 2 shown]
	v_fma_f32 v146, v130, v42, -v76
	s_waitcnt vmcnt(5)
	v_mul_f32_e32 v76, v79, v65
	v_mul_f32_e32 v145, v126, v41
	v_fma_f32 v126, v78, v64, -v76
	v_mul_f32_e32 v76, v83, v67
	v_mul_f32_e32 v143, v122, v55
	v_fma_f32 v122, v82, v66, -v76
	s_waitcnt vmcnt(4)
	v_mul_f32_e32 v76, v87, v61
	v_mul_f32_e32 v141, v118, v53
	v_fma_f32 v118, v86, v60, -v76
	v_mul_f32_e32 v76, v91, v63
	v_mul_f32_e32 v139, v114, v27
	v_fma_f32 v114, v90, v62, -v76
	s_waitcnt vmcnt(2)
	v_mul_f32_e32 v76, v95, v57
	v_mul_f32_e32 v137, v108, v25
	v_fma_f32 v108, v94, v56, -v76
	v_mul_f32_e32 v76, v107, v59
	v_mul_f32_e32 v135, v104, v31
	v_fma_f32 v104, v106, v58, -v76
	v_mul_f32_e32 v76, v111, v37
	v_fmac_f32_e32 v135, v105, v30
	v_mul_f32_e32 v105, v106, v59
	v_fma_f32 v106, v110, v36, -v76
	v_mul_f32_e32 v76, v117, v39
	v_fmac_f32_e32 v105, v107, v58
	v_mul_f32_e32 v107, v110, v37
	v_fma_f32 v110, v116, v38, -v76
	s_waitcnt vmcnt(0)
	v_mul_f32_e32 v76, v121, v73
	v_fmac_f32_e32 v97, v77, v44
	v_fmac_f32_e32 v107, v111, v36
	v_mul_f32_e32 v111, v116, v39
	v_fma_f32 v116, v120, v72, -v76
	v_mul_f32_e32 v76, v125, v75
	v_fmac_f32_e32 v111, v117, v38
	v_mul_f32_e32 v117, v120, v73
	v_fma_f32 v120, v124, v74, -v76
	v_mul_f32_e32 v76, v129, v69
	v_add_f32_e32 v77, v49, v97
	v_fmac_f32_e32 v117, v121, v72
	v_mul_f32_e32 v121, v124, v75
	v_fma_f32 v124, v128, v68, -v76
	v_mul_f32_e32 v76, v133, v71
	v_add_f32_e32 v77, v77, v80
	v_fma_f32 v147, v132, v70, -v76
	v_add_f32_e32 v76, v48, v96
	v_add_f32_e32 v77, v77, v84
	;; [unrolled: 1-line block ×6, first 2 shown]
	v_fmac_f32_e32 v137, v109, v24
	v_add_f32_e32 v76, v76, v85
	v_add_f32_e32 v77, v77, v135
	v_fmac_f32_e32 v139, v115, v26
	v_add_f32_e32 v76, v76, v89
	v_add_f32_e32 v77, v77, v137
	;; [unrolled: 3-line block ×4, first 2 shown]
	v_fmac_f32_e32 v145, v127, v40
	v_mul_f32_e32 v130, v130, v43
	v_add_f32_e32 v76, v76, v138
	v_add_f32_e32 v77, v77, v143
	v_fmac_f32_e32 v130, v131, v42
	v_mul_f32_e32 v127, v78, v65
	v_mul_f32_e32 v123, v82, v67
	v_add_f32_e32 v76, v76, v140
	v_add_f32_e32 v77, v77, v145
	v_sub_f32_e32 v82, v96, v146
	v_fmac_f32_e32 v127, v79, v64
	v_fmac_f32_e32 v123, v83, v66
	v_mul_f32_e32 v115, v90, v63
	v_mul_f32_e32 v132, v132, v71
	v_add_f32_e32 v76, v76, v142
	v_add_f32_e32 v77, v77, v130
	;; [unrolled: 1-line block ×4, first 2 shown]
	v_sub_f32_e32 v83, v97, v130
	v_mul_f32_e32 v90, 0xbeedf032, v82
	v_mul_f32_e32 v96, 0xbf52af12, v82
	;; [unrolled: 1-line block ×7, first 2 shown]
	v_fmac_f32_e32 v115, v91, v62
	v_mul_f32_e32 v109, v94, v57
	v_fmac_f32_e32 v121, v125, v74
	v_mul_f32_e32 v125, v128, v69
	v_fmac_f32_e32 v132, v133, v70
	v_add_f32_e32 v76, v76, v144
	v_mul_f32_e32 v86, 0xbeedf032, v83
	v_mov_b32_e32 v91, v90
	v_mul_f32_e32 v94, 0xbf52af12, v83
	v_mov_b32_e32 v97, v96
	;; [unrolled: 2-line block ×6, first 2 shown]
	v_fmac_f32_e32 v119, v87, v60
	v_fmac_f32_e32 v109, v95, v56
	;; [unrolled: 1-line block ×3, first 2 shown]
	v_add_f32_e32 v76, v76, v146
	v_fma_f32 v87, v78, s16, -v86
	v_fmac_f32_e32 v91, 0x3f62ad3f, v79
	v_fmac_f32_e32 v86, 0x3f62ad3f, v78
	v_fma_f32 v90, v79, s16, -v90
	v_fma_f32 v95, v78, s7, -v94
	v_fmac_f32_e32 v97, 0x3f116cb1, v79
	v_fmac_f32_e32 v94, 0x3f116cb1, v78
	v_fma_f32 v96, v79, s7, -v96
	;; [unrolled: 4-line block ×6, first 2 shown]
	v_add_f32_e32 v79, v80, v145
	v_sub_f32_e32 v80, v80, v145
	v_add_f32_e32 v87, v48, v87
	v_add_f32_e32 v91, v49, v91
	;; [unrolled: 1-line block ×25, first 2 shown]
	v_mul_f32_e32 v83, 0xbf52af12, v80
	v_sub_f32_e32 v82, v134, v144
	v_fma_f32 v134, v78, s7, -v83
	v_add_f32_e32 v87, v134, v87
	v_mul_f32_e32 v134, 0xbf52af12, v82
	v_fmac_f32_e32 v83, 0x3f116cb1, v78
	v_add_f32_e32 v83, v83, v86
	v_fma_f32 v86, v79, s7, -v134
	v_add_f32_e32 v86, v86, v90
	v_mul_f32_e32 v90, 0xbf6f5d39, v80
	v_mov_b32_e32 v144, v134
	v_fma_f32 v134, v78, s17, -v90
	v_add_f32_e32 v95, v134, v95
	v_mul_f32_e32 v134, 0xbf6f5d39, v82
	v_fmac_f32_e32 v90, 0xbeb58ec6, v78
	v_add_f32_e32 v90, v90, v94
	v_fma_f32 v94, v79, s17, -v134
	v_fmac_f32_e32 v144, 0x3f116cb1, v79
	v_add_f32_e32 v94, v94, v96
	v_mul_f32_e32 v96, 0xbe750f2a, v80
	v_add_f32_e32 v91, v144, v91
	v_mov_b32_e32 v144, v134
	v_fma_f32 v134, v78, s19, -v96
	v_fmac_f32_e32 v144, 0xbeb58ec6, v79
	v_add_f32_e32 v129, v134, v129
	v_mul_f32_e32 v134, 0xbe750f2a, v82
	v_fmac_f32_e32 v96, 0xbf788fa5, v78
	v_add_f32_e32 v97, v144, v97
	v_mov_b32_e32 v144, v134
	v_add_f32_e32 v96, v96, v128
	v_fma_f32 v128, v79, s19, -v134
	v_fmac_f32_e32 v144, 0xbf788fa5, v79
	v_add_f32_e32 v128, v128, v130
	v_mul_f32_e32 v130, 0x3f29c268, v80
	v_add_f32_e32 v131, v144, v131
	v_fma_f32 v134, v78, s18, -v130
	v_mul_f32_e32 v144, 0x3f29c268, v82
	v_fmac_f32_e32 v130, 0xbf3f9e67, v78
	v_mov_b32_e32 v145, v144
	v_add_f32_e32 v130, v130, v133
	v_fma_f32 v133, v79, s18, -v144
	v_mul_f32_e32 v144, 0x3f7e222b, v80
	v_add_f32_e32 v134, v134, v146
	v_add_f32_e32 v133, v133, v202
	v_fma_f32 v146, v78, s6, -v144
	v_mul_f32_e32 v202, 0x3f7e222b, v82
	v_fmac_f32_e32 v144, 0x3df6dbef, v78
	v_mul_f32_e32 v80, 0x3eedf032, v80
	v_mul_f32_e32 v82, 0x3eedf032, v82
	v_add_f32_e32 v144, v144, v204
	v_fma_f32 v204, v78, s16, -v80
	v_fmac_f32_e32 v80, 0x3f62ad3f, v78
	v_fma_f32 v78, v79, s16, -v82
	v_fmac_f32_e32 v145, 0xbf3f9e67, v79
	v_add_f32_e32 v48, v80, v48
	v_add_f32_e32 v49, v78, v49
	v_add_f32_e32 v78, v81, v142
	v_sub_f32_e32 v80, v81, v142
	v_sub_f32_e32 v81, v84, v143
	v_add_f32_e32 v145, v145, v203
	v_add_f32_e32 v146, v146, v205
	v_mov_b32_e32 v203, v202
	v_mov_b32_e32 v205, v82
	v_mul_f32_e32 v82, 0xbf7e222b, v81
	v_fmac_f32_e32 v203, 0x3df6dbef, v79
	v_fma_f32 v202, v79, s6, -v202
	v_fmac_f32_e32 v205, 0x3f62ad3f, v79
	v_add_f32_e32 v79, v84, v143
	v_fma_f32 v84, v78, s6, -v82
	v_add_f32_e32 v84, v84, v87
	v_mul_f32_e32 v87, 0xbf7e222b, v80
	v_fmac_f32_e32 v82, 0x3df6dbef, v78
	v_add_f32_e32 v82, v82, v83
	v_fma_f32 v83, v79, s6, -v87
	v_add_f32_e32 v83, v83, v86
	v_mul_f32_e32 v86, 0xbe750f2a, v81
	v_mov_b32_e32 v142, v87
	v_fma_f32 v87, v78, s19, -v86
	v_add_f32_e32 v87, v87, v95
	v_mul_f32_e32 v95, 0xbe750f2a, v80
	v_fmac_f32_e32 v86, 0xbf788fa5, v78
	v_add_f32_e32 v86, v86, v90
	v_fma_f32 v90, v79, s19, -v95
	v_fmac_f32_e32 v142, 0x3df6dbef, v79
	v_add_f32_e32 v90, v90, v94
	v_mul_f32_e32 v94, 0x3f6f5d39, v81
	v_add_f32_e32 v91, v142, v91
	v_mov_b32_e32 v142, v95
	v_fma_f32 v95, v78, s17, -v94
	v_add_f32_e32 v95, v95, v129
	v_mul_f32_e32 v129, 0x3f6f5d39, v80
	v_fmac_f32_e32 v94, 0xbeb58ec6, v78
	v_add_f32_e32 v94, v94, v96
	v_fma_f32 v96, v79, s17, -v129
	v_fmac_f32_e32 v142, 0xbf788fa5, v79
	v_add_f32_e32 v96, v96, v128
	v_mul_f32_e32 v128, 0x3eedf032, v81
	v_add_f32_e32 v97, v142, v97
	;; [unrolled: 11-line block ×3, first 2 shown]
	v_mov_b32_e32 v142, v134
	v_fma_f32 v134, v78, s7, -v133
	v_fmac_f32_e32 v133, 0x3f116cb1, v78
	v_mul_f32_e32 v81, 0xbf29c268, v81
	v_mul_f32_e32 v143, 0xbf52af12, v80
	v_add_f32_e32 v133, v133, v144
	v_fma_f32 v144, v78, s18, -v81
	v_mul_f32_e32 v80, 0xbf29c268, v80
	v_fmac_f32_e32 v81, 0xbf3f9e67, v78
	v_fmac_f32_e32 v142, 0x3f62ad3f, v79
	v_add_f32_e32 v48, v81, v48
	v_fma_f32 v78, v79, s18, -v80
	v_sub_f32_e32 v81, v88, v141
	v_add_f32_e32 v142, v142, v145
	v_add_f32_e32 v134, v134, v146
	v_mov_b32_e32 v145, v143
	v_mov_b32_e32 v146, v80
	v_add_f32_e32 v49, v78, v49
	v_add_f32_e32 v78, v85, v140
	v_sub_f32_e32 v80, v85, v140
	v_mul_f32_e32 v85, 0xbf6f5d39, v81
	v_fmac_f32_e32 v145, 0x3f116cb1, v79
	v_fma_f32 v143, v79, s7, -v143
	v_fmac_f32_e32 v146, 0xbf3f9e67, v79
	v_add_f32_e32 v79, v88, v141
	v_fma_f32 v88, v78, s17, -v85
	v_add_f32_e32 v84, v88, v84
	v_mul_f32_e32 v88, 0xbf6f5d39, v80
	v_fmac_f32_e32 v85, 0xbeb58ec6, v78
	v_add_f32_e32 v82, v85, v82
	v_fma_f32 v85, v79, s17, -v88
	v_add_f32_e32 v83, v85, v83
	v_mul_f32_e32 v85, 0x3f29c268, v81
	v_mov_b32_e32 v140, v88
	v_fma_f32 v88, v78, s18, -v85
	v_fmac_f32_e32 v140, 0xbeb58ec6, v79
	v_add_f32_e32 v87, v88, v87
	v_mul_f32_e32 v88, 0x3f29c268, v80
	v_fmac_f32_e32 v85, 0xbf3f9e67, v78
	v_add_f32_e32 v91, v140, v91
	v_mov_b32_e32 v140, v88
	v_add_f32_e32 v85, v85, v86
	v_fma_f32 v86, v79, s18, -v88
	v_mul_f32_e32 v88, 0x3eedf032, v81
	v_add_f32_e32 v86, v86, v90
	v_fma_f32 v90, v78, s16, -v88
	v_fmac_f32_e32 v140, 0xbf3f9e67, v79
	v_add_f32_e32 v90, v90, v95
	v_mul_f32_e32 v95, 0x3eedf032, v80
	v_fmac_f32_e32 v88, 0x3f62ad3f, v78
	v_add_f32_e32 v97, v140, v97
	v_mov_b32_e32 v140, v95
	v_add_f32_e32 v88, v88, v94
	v_fma_f32 v94, v79, s16, -v95
	v_mul_f32_e32 v95, 0xbf7e222b, v81
	v_add_f32_e32 v94, v94, v96
	v_fma_f32 v96, v78, s6, -v95
	v_fmac_f32_e32 v140, 0x3f62ad3f, v79
	v_add_f32_e32 v96, v96, v129
	v_mul_f32_e32 v129, 0xbf7e222b, v80
	v_fmac_f32_e32 v95, 0x3df6dbef, v78
	v_add_f32_e32 v131, v140, v131
	v_mov_b32_e32 v140, v129
	v_add_f32_e32 v95, v95, v128
	v_fma_f32 v128, v79, s6, -v129
	v_mul_f32_e32 v129, 0x3e750f2a, v81
	v_add_f32_e32 v128, v128, v130
	v_fma_f32 v130, v78, s19, -v129
	v_add_f32_e32 v130, v130, v134
	v_mul_f32_e32 v134, 0x3e750f2a, v80
	v_fmac_f32_e32 v129, 0xbf788fa5, v78
	v_mul_f32_e32 v81, 0x3f52af12, v81
	v_mov_b32_e32 v141, v134
	v_add_f32_e32 v129, v129, v133
	v_fma_f32 v133, v79, s19, -v134
	v_fma_f32 v134, v78, s7, -v81
	v_mul_f32_e32 v80, 0x3f52af12, v80
	v_fmac_f32_e32 v81, 0x3f116cb1, v78
	v_fmac_f32_e32 v140, 0x3df6dbef, v79
	v_add_f32_e32 v48, v81, v48
	v_fma_f32 v78, v79, s7, -v80
	v_sub_f32_e32 v81, v92, v139
	v_add_f32_e32 v140, v140, v142
	v_mov_b32_e32 v142, v80
	v_add_f32_e32 v49, v78, v49
	v_add_f32_e32 v78, v89, v138
	v_sub_f32_e32 v80, v89, v138
	v_mul_f32_e32 v89, 0xbf29c268, v81
	v_fmac_f32_e32 v141, 0xbf788fa5, v79
	v_fmac_f32_e32 v142, 0x3f116cb1, v79
	v_add_f32_e32 v79, v92, v139
	v_fma_f32 v92, v78, s18, -v89
	v_add_f32_e32 v84, v92, v84
	v_mul_f32_e32 v92, 0xbf29c268, v80
	v_fmac_f32_e32 v89, 0xbf3f9e67, v78
	v_add_f32_e32 v82, v89, v82
	v_fma_f32 v89, v79, s18, -v92
	v_add_f32_e32 v83, v89, v83
	v_mul_f32_e32 v89, 0x3f7e222b, v81
	v_mov_b32_e32 v138, v92
	v_fma_f32 v92, v78, s6, -v89
	v_add_f32_e32 v87, v92, v87
	v_mul_f32_e32 v92, 0x3f7e222b, v80
	v_fmac_f32_e32 v89, 0x3df6dbef, v78
	v_add_f32_e32 v89, v89, v85
	v_fma_f32 v85, v79, s6, -v92
	v_fmac_f32_e32 v138, 0xbf3f9e67, v79
	v_add_f32_e32 v86, v85, v86
	v_mul_f32_e32 v85, 0xbf52af12, v81
	v_add_f32_e32 v91, v138, v91
	v_mov_b32_e32 v138, v92
	v_fma_f32 v92, v78, s7, -v85
	v_add_f32_e32 v90, v92, v90
	v_mul_f32_e32 v92, 0xbf52af12, v80
	v_fmac_f32_e32 v85, 0x3f116cb1, v78
	v_fmac_f32_e32 v138, 0x3df6dbef, v79
	v_add_f32_e32 v88, v85, v88
	v_fma_f32 v85, v79, s7, -v92
	v_add_f32_e32 v97, v138, v97
	v_mov_b32_e32 v138, v92
	v_add_f32_e32 v92, v85, v94
	v_mul_f32_e32 v85, 0x3e750f2a, v81
	v_fma_f32 v94, v78, s19, -v85
	v_add_f32_e32 v94, v94, v96
	v_mul_f32_e32 v96, 0x3e750f2a, v80
	v_fmac_f32_e32 v85, 0xbf788fa5, v78
	v_fmac_f32_e32 v138, 0x3f116cb1, v79
	v_add_f32_e32 v95, v85, v95
	v_fma_f32 v85, v79, s19, -v96
	v_add_f32_e32 v131, v138, v131
	v_mov_b32_e32 v138, v96
	v_add_f32_e32 v96, v85, v128
	v_mul_f32_e32 v85, 0x3eedf032, v81
	v_add_f32_e32 v202, v202, v206
	v_fma_f32 v128, v78, s16, -v85
	v_add_f32_e32 v204, v204, v208
	v_add_f32_e32 v143, v143, v202
	;; [unrolled: 1-line block ×3, first 2 shown]
	v_mul_f32_e32 v130, 0x3eedf032, v80
	v_fmac_f32_e32 v85, 0x3f62ad3f, v78
	v_add_f32_e32 v144, v144, v204
	v_add_f32_e32 v133, v133, v143
	;; [unrolled: 1-line block ×3, first 2 shown]
	v_fma_f32 v85, v79, s16, -v130
	v_mul_f32_e32 v81, 0xbf6f5d39, v81
	v_add_f32_e32 v203, v203, v207
	v_add_f32_e32 v205, v205, v209
	v_add_f32_e32 v134, v134, v144
	v_mov_b32_e32 v139, v130
	v_add_f32_e32 v130, v85, v133
	v_fma_f32 v85, v78, s17, -v81
	v_mul_f32_e32 v80, 0xbf6f5d39, v80
	v_add_f32_e32 v145, v145, v203
	v_add_f32_e32 v146, v146, v205
	v_fmac_f32_e32 v138, 0xbf788fa5, v79
	v_add_f32_e32 v133, v85, v134
	v_mov_b32_e32 v85, v80
	v_fmac_f32_e32 v81, 0xbeb58ec6, v78
	v_add_f32_e32 v141, v141, v145
	v_add_f32_e32 v142, v142, v146
	;; [unrolled: 1-line block ×3, first 2 shown]
	v_fmac_f32_e32 v139, 0x3f62ad3f, v79
	v_fmac_f32_e32 v85, 0xbeb58ec6, v79
	v_add_f32_e32 v140, v81, v48
	v_fma_f32 v48, v79, s17, -v80
	v_add_f32_e32 v143, v135, v137
	v_sub_f32_e32 v135, v135, v137
	v_add_f32_e32 v139, v139, v141
	v_add_f32_e32 v134, v85, v142
	;; [unrolled: 1-line block ×4, first 2 shown]
	v_mul_f32_e32 v48, 0xbe750f2a, v135
	v_sub_f32_e32 v136, v93, v136
	v_fma_f32 v49, v142, s19, -v48
	v_add_f32_e32 v80, v49, v84
	v_mul_f32_e32 v49, 0xbe750f2a, v136
	v_mov_b32_e32 v78, v49
	v_fmac_f32_e32 v78, 0xbf788fa5, v143
	v_add_f32_e32 v81, v78, v91
	v_mul_f32_e32 v78, 0x3eedf032, v135
	v_fma_f32 v79, v142, s16, -v78
	v_fmac_f32_e32 v48, 0xbf788fa5, v142
	v_add_f32_e32 v84, v79, v87
	v_mul_f32_e32 v79, 0x3eedf032, v136
	v_add_f32_e32 v48, v48, v82
	v_mov_b32_e32 v82, v79
	v_fmac_f32_e32 v82, 0x3f62ad3f, v143
	v_fma_f32 v49, v143, s19, -v49
	v_add_f32_e32 v85, v82, v97
	v_mul_f32_e32 v82, 0xbf29c268, v135
	v_add_f32_e32 v49, v49, v83
	v_fma_f32 v79, v143, s16, -v79
	v_fma_f32 v83, v142, s18, -v82
	v_add_f32_e32 v79, v79, v86
	v_add_f32_e32 v86, v83, v90
	v_mul_f32_e32 v83, 0xbf29c268, v136
	v_mov_b32_e32 v87, v83
	v_fmac_f32_e32 v82, 0xbf3f9e67, v142
	v_fma_f32 v83, v143, s18, -v83
	v_fmac_f32_e32 v78, 0x3f62ad3f, v142
	v_add_f32_e32 v82, v82, v88
	v_add_f32_e32 v83, v83, v92
	v_mul_f32_e32 v88, 0x3f52af12, v135
	v_mul_f32_e32 v92, 0xbf6f5d39, v135
	v_add_f32_e32 v78, v78, v89
	v_fma_f32 v89, v142, s7, -v88
	v_fma_f32 v93, v142, s17, -v92
	v_fmac_f32_e32 v87, 0xbf3f9e67, v143
	v_add_f32_e32 v90, v89, v94
	v_fmac_f32_e32 v88, 0x3f116cb1, v142
	v_add_f32_e32 v94, v93, v128
	v_mul_f32_e32 v93, 0xbf6f5d39, v136
	v_add_f32_e32 v87, v87, v131
	v_add_f32_e32 v88, v88, v95
	v_mov_b32_e32 v95, v93
	v_fma_f32 v93, v143, s17, -v93
	v_add_f32_e32 v131, v51, v127
	v_add_f32_e32 v93, v93, v130
	;; [unrolled: 1-line block ×12, first 2 shown]
	v_fmac_f32_e32 v92, 0xbeb58ec6, v142
	v_add_f32_e32 v130, v130, v104
	v_add_f32_e32 v131, v131, v107
	v_mul_f32_e32 v89, 0x3f52af12, v136
	v_add_f32_e32 v92, v92, v129
	v_mul_f32_e32 v129, 0x3f7e222b, v136
	v_add_f32_e32 v130, v130, v106
	v_add_f32_e32 v131, v131, v111
	v_mov_b32_e32 v91, v89
	v_fma_f32 v89, v143, s7, -v89
	v_mul_f32_e32 v128, 0x3f7e222b, v135
	v_mov_b32_e32 v97, v129
	v_add_f32_e32 v130, v130, v110
	v_add_f32_e32 v131, v131, v117
	;; [unrolled: 1-line block ×3, first 2 shown]
	v_fma_f32 v96, v142, s6, -v128
	v_fmac_f32_e32 v97, 0x3df6dbef, v143
	v_add_f32_e32 v130, v130, v116
	v_add_f32_e32 v131, v131, v121
	v_fmac_f32_e32 v91, 0x3f116cb1, v143
	v_add_f32_e32 v96, v96, v133
	v_add_f32_e32 v97, v97, v134
	;; [unrolled: 3-line block ×3, first 2 shown]
	v_add_f32_e32 v133, v126, v147
	v_add_f32_e32 v134, v127, v132
	v_sub_f32_e32 v126, v126, v147
	v_sub_f32_e32 v127, v127, v132
	v_add_f32_e32 v91, v91, v138
	v_fmac_f32_e32 v95, 0xbeb58ec6, v143
	v_add_f32_e32 v128, v128, v140
	v_fma_f32 v129, v143, s6, -v129
	v_add_f32_e32 v130, v130, v124
	v_add_f32_e32 v131, v131, v132
	v_mul_f32_e32 v132, 0xbeedf032, v127
	v_mul_f32_e32 v136, 0xbeedf032, v126
	;; [unrolled: 1-line block ×12, first 2 shown]
	v_add_f32_e32 v95, v95, v139
	v_add_f32_e32 v129, v129, v141
	;; [unrolled: 1-line block ×3, first 2 shown]
	v_fma_f32 v135, v133, s16, -v132
	v_mov_b32_e32 v137, v136
	v_fmac_f32_e32 v132, 0x3f62ad3f, v133
	v_fma_f32 v139, v133, s7, -v138
	v_mov_b32_e32 v141, v140
	v_fmac_f32_e32 v138, 0x3f116cb1, v133
	;; [unrolled: 3-line block ×6, first 2 shown]
	v_add_f32_e32 v135, v50, v135
	v_fmac_f32_e32 v137, 0x3f62ad3f, v134
	v_add_f32_e32 v132, v50, v132
	v_fma_f32 v136, v134, s16, -v136
	v_add_f32_e32 v139, v50, v139
	v_fmac_f32_e32 v141, 0x3f116cb1, v134
	v_add_f32_e32 v138, v50, v138
	v_fma_f32 v140, v134, s7, -v140
	;; [unrolled: 4-line block ×6, first 2 shown]
	v_add_f32_e32 v127, v123, v125
	v_sub_f32_e32 v123, v123, v125
	v_add_f32_e32 v137, v51, v137
	v_add_f32_e32 v136, v51, v136
	;; [unrolled: 1-line block ×13, first 2 shown]
	v_sub_f32_e32 v122, v122, v124
	v_mul_f32_e32 v124, 0xbf52af12, v123
	v_fma_f32 v125, v126, s7, -v124
	v_mul_f32_e32 v133, 0xbf52af12, v122
	v_fmac_f32_e32 v124, 0x3f116cb1, v126
	v_mov_b32_e32 v134, v133
	v_add_f32_e32 v124, v124, v132
	v_fma_f32 v132, v127, s7, -v133
	v_mul_f32_e32 v133, 0xbf6f5d39, v123
	v_add_f32_e32 v125, v125, v135
	v_fma_f32 v135, v126, s17, -v133
	v_fmac_f32_e32 v133, 0xbeb58ec6, v126
	v_fmac_f32_e32 v134, 0x3f116cb1, v127
	v_add_f32_e32 v132, v132, v136
	v_mul_f32_e32 v136, 0xbf6f5d39, v122
	v_add_f32_e32 v133, v133, v138
	v_mul_f32_e32 v138, 0xbe750f2a, v123
	v_add_f32_e32 v134, v134, v137
	v_add_f32_e32 v135, v135, v139
	v_mov_b32_e32 v137, v136
	v_fma_f32 v136, v127, s17, -v136
	v_fma_f32 v139, v126, s19, -v138
	v_fmac_f32_e32 v138, 0xbf788fa5, v126
	v_fmac_f32_e32 v137, 0xbeb58ec6, v127
	v_add_f32_e32 v136, v136, v140
	v_mul_f32_e32 v140, 0xbe750f2a, v122
	v_add_f32_e32 v138, v138, v142
	v_mul_f32_e32 v142, 0x3f29c268, v123
	v_add_f32_e32 v137, v137, v141
	v_add_f32_e32 v139, v139, v143
	v_mov_b32_e32 v141, v140
	v_fma_f32 v140, v127, s19, -v140
	;; [unrolled: 11-line block ×3, first 2 shown]
	v_fma_f32 v147, v126, s6, -v146
	v_fmac_f32_e32 v146, 0x3df6dbef, v126
	v_mul_f32_e32 v123, 0x3eedf032, v123
	v_add_f32_e32 v144, v144, v202
	v_mul_f32_e32 v202, 0x3f7e222b, v122
	v_add_f32_e32 v146, v146, v204
	v_fma_f32 v204, v126, s16, -v123
	v_mul_f32_e32 v122, 0x3eedf032, v122
	v_fmac_f32_e32 v123, 0x3f62ad3f, v126
	v_add_f32_e32 v147, v147, v205
	v_mov_b32_e32 v205, v122
	v_add_f32_e32 v50, v123, v50
	v_fma_f32 v122, v127, s16, -v122
	v_add_f32_e32 v123, v119, v121
	v_sub_f32_e32 v119, v119, v121
	v_add_f32_e32 v51, v122, v51
	v_add_f32_e32 v122, v118, v120
	v_sub_f32_e32 v118, v118, v120
	v_mul_f32_e32 v120, 0xbf7e222b, v119
	v_fma_f32 v121, v122, s6, -v120
	v_fmac_f32_e32 v145, 0xbf3f9e67, v127
	v_add_f32_e32 v121, v121, v125
	v_mul_f32_e32 v125, 0xbf7e222b, v118
	v_fmac_f32_e32 v120, 0x3df6dbef, v122
	v_add_f32_e32 v145, v145, v203
	v_mov_b32_e32 v203, v202
	v_mov_b32_e32 v126, v125
	v_add_f32_e32 v120, v120, v124
	v_fma_f32 v124, v123, s6, -v125
	v_mul_f32_e32 v125, 0xbe750f2a, v119
	v_fmac_f32_e32 v203, 0x3df6dbef, v127
	v_fma_f32 v202, v127, s6, -v202
	v_fmac_f32_e32 v205, 0x3f62ad3f, v127
	v_fma_f32 v127, v122, s19, -v125
	v_fmac_f32_e32 v125, 0xbf788fa5, v122
	v_fmac_f32_e32 v126, 0x3df6dbef, v123
	v_add_f32_e32 v124, v124, v132
	v_mul_f32_e32 v132, 0xbe750f2a, v118
	v_add_f32_e32 v125, v125, v133
	v_mul_f32_e32 v133, 0x3f6f5d39, v119
	v_add_f32_e32 v126, v126, v134
	v_add_f32_e32 v127, v127, v135
	v_mov_b32_e32 v134, v132
	v_fma_f32 v132, v123, s19, -v132
	v_fma_f32 v135, v122, s17, -v133
	v_fmac_f32_e32 v133, 0xbeb58ec6, v122
	v_fmac_f32_e32 v134, 0xbf788fa5, v123
	v_add_f32_e32 v132, v132, v136
	v_mul_f32_e32 v136, 0x3f6f5d39, v118
	v_add_f32_e32 v133, v133, v138
	v_mul_f32_e32 v138, 0x3eedf032, v119
	v_add_f32_e32 v134, v134, v137
	v_add_f32_e32 v135, v135, v139
	v_mov_b32_e32 v137, v136
	v_fma_f32 v136, v123, s17, -v136
	;; [unrolled: 11-line block ×3, first 2 shown]
	v_fma_f32 v143, v122, s7, -v142
	v_fmac_f32_e32 v142, 0x3f116cb1, v122
	v_mul_f32_e32 v119, 0xbf29c268, v119
	v_add_f32_e32 v140, v140, v144
	v_mul_f32_e32 v144, 0xbf52af12, v118
	v_add_f32_e32 v142, v142, v146
	v_fma_f32 v146, v122, s18, -v119
	v_mul_f32_e32 v118, 0xbf29c268, v118
	v_fmac_f32_e32 v119, 0xbf3f9e67, v122
	v_add_f32_e32 v143, v143, v147
	v_mov_b32_e32 v147, v118
	v_add_f32_e32 v50, v119, v50
	v_fma_f32 v118, v123, s18, -v118
	v_add_f32_e32 v119, v115, v117
	v_sub_f32_e32 v115, v115, v117
	v_add_f32_e32 v51, v118, v51
	v_add_f32_e32 v118, v114, v116
	v_sub_f32_e32 v114, v114, v116
	v_mul_f32_e32 v116, 0xbf6f5d39, v115
	v_fma_f32 v117, v118, s17, -v116
	v_fmac_f32_e32 v141, 0x3f62ad3f, v123
	v_add_f32_e32 v117, v117, v121
	v_mul_f32_e32 v121, 0xbf6f5d39, v114
	v_fmac_f32_e32 v116, 0xbeb58ec6, v118
	v_add_f32_e32 v141, v141, v145
	v_mov_b32_e32 v145, v144
	v_mov_b32_e32 v122, v121
	v_add_f32_e32 v116, v116, v120
	v_fma_f32 v120, v119, s17, -v121
	v_mul_f32_e32 v121, 0x3f29c268, v115
	v_fmac_f32_e32 v145, 0x3f116cb1, v123
	v_fma_f32 v144, v123, s7, -v144
	v_fmac_f32_e32 v147, 0xbf3f9e67, v123
	v_fma_f32 v123, v118, s18, -v121
	v_fmac_f32_e32 v121, 0xbf3f9e67, v118
	v_fmac_f32_e32 v122, 0xbeb58ec6, v119
	v_add_f32_e32 v120, v120, v124
	v_mul_f32_e32 v124, 0x3f29c268, v114
	v_add_f32_e32 v121, v121, v125
	v_mul_f32_e32 v125, 0x3eedf032, v115
	v_add_f32_e32 v122, v122, v126
	v_add_f32_e32 v123, v123, v127
	v_mov_b32_e32 v126, v124
	v_fma_f32 v124, v119, s18, -v124
	v_fma_f32 v127, v118, s16, -v125
	v_fmac_f32_e32 v125, 0x3f62ad3f, v118
	v_fmac_f32_e32 v126, 0xbf3f9e67, v119
	v_add_f32_e32 v124, v124, v132
	v_mul_f32_e32 v132, 0x3eedf032, v114
	v_add_f32_e32 v125, v125, v133
	v_mul_f32_e32 v133, 0xbf7e222b, v115
	v_add_f32_e32 v126, v126, v134
	v_add_f32_e32 v127, v127, v135
	v_mov_b32_e32 v134, v132
	v_fma_f32 v132, v119, s16, -v132
	;; [unrolled: 11-line block ×3, first 2 shown]
	v_fma_f32 v139, v118, s19, -v138
	v_fmac_f32_e32 v138, 0xbf788fa5, v118
	v_mul_f32_e32 v115, 0x3f52af12, v115
	v_add_f32_e32 v136, v136, v140
	v_mul_f32_e32 v140, 0x3e750f2a, v114
	v_add_f32_e32 v138, v138, v142
	v_fma_f32 v142, v118, s7, -v115
	v_mul_f32_e32 v114, 0x3f52af12, v114
	v_fmac_f32_e32 v115, 0x3f116cb1, v118
	v_add_f32_e32 v139, v139, v143
	v_mov_b32_e32 v143, v114
	v_add_f32_e32 v50, v115, v50
	v_fma_f32 v114, v119, s7, -v114
	v_add_f32_e32 v115, v109, v111
	v_sub_f32_e32 v109, v109, v111
	v_add_f32_e32 v51, v114, v51
	v_add_f32_e32 v114, v108, v110
	v_sub_f32_e32 v108, v108, v110
	v_mul_f32_e32 v110, 0xbf29c268, v109
	v_fma_f32 v111, v114, s18, -v110
	v_fmac_f32_e32 v137, 0x3df6dbef, v119
	v_add_f32_e32 v111, v111, v117
	v_mul_f32_e32 v117, 0xbf29c268, v108
	v_fmac_f32_e32 v110, 0xbf3f9e67, v114
	v_add_f32_e32 v137, v137, v141
	v_mov_b32_e32 v141, v140
	v_mov_b32_e32 v118, v117
	v_add_f32_e32 v110, v110, v116
	v_fma_f32 v116, v115, s18, -v117
	v_mul_f32_e32 v117, 0x3f7e222b, v109
	v_fmac_f32_e32 v141, 0xbf788fa5, v119
	v_fma_f32 v140, v119, s19, -v140
	v_fmac_f32_e32 v143, 0x3f116cb1, v119
	v_fmac_f32_e32 v118, 0xbf3f9e67, v115
	v_add_f32_e32 v116, v116, v120
	v_fma_f32 v119, v114, s6, -v117
	v_mul_f32_e32 v120, 0x3f7e222b, v108
	v_fmac_f32_e32 v117, 0x3df6dbef, v114
	v_add_f32_e32 v118, v118, v122
	v_mov_b32_e32 v122, v120
	v_add_f32_e32 v117, v117, v121
	v_fma_f32 v120, v115, s6, -v120
	v_mul_f32_e32 v121, 0xbf52af12, v109
	v_add_f32_e32 v119, v119, v123
	v_fmac_f32_e32 v122, 0x3df6dbef, v115
	v_add_f32_e32 v120, v120, v124
	v_fma_f32 v123, v114, s7, -v121
	v_mul_f32_e32 v124, 0xbf52af12, v108
	v_fmac_f32_e32 v121, 0x3f116cb1, v114
	v_add_f32_e32 v122, v122, v126
	v_mov_b32_e32 v126, v124
	v_add_f32_e32 v121, v121, v125
	v_fma_f32 v124, v115, s7, -v124
	v_mul_f32_e32 v125, 0x3e750f2a, v109
	v_add_f32_e32 v123, v123, v127
	v_fmac_f32_e32 v126, 0x3f116cb1, v115
	v_add_f32_e32 v124, v124, v132
	v_fma_f32 v127, v114, s19, -v125
	v_mul_f32_e32 v132, 0x3e750f2a, v108
	v_fmac_f32_e32 v125, 0xbf788fa5, v114
	v_add_f32_e32 v203, v203, v207
	v_add_f32_e32 v202, v202, v206
	;; [unrolled: 1-line block ×4, first 2 shown]
	v_mov_b32_e32 v134, v132
	v_add_f32_e32 v125, v125, v133
	v_fma_f32 v132, v115, s19, -v132
	v_mul_f32_e32 v133, 0x3eedf032, v109
	v_add_f32_e32 v205, v205, v209
	v_add_f32_e32 v145, v145, v203
	;; [unrolled: 1-line block ×5, first 2 shown]
	v_fmac_f32_e32 v134, 0xbf788fa5, v115
	v_add_f32_e32 v132, v132, v136
	v_fma_f32 v135, v114, s16, -v133
	v_mul_f32_e32 v136, 0x3eedf032, v108
	v_fmac_f32_e32 v133, 0x3f62ad3f, v114
	v_mul_f32_e32 v109, 0xbf6f5d39, v109
	v_mul_f32_e32 v108, 0xbf6f5d39, v108
	v_add_f32_e32 v147, v147, v205
	v_add_f32_e32 v141, v141, v145
	;; [unrolled: 1-line block ×6, first 2 shown]
	v_mov_b32_e32 v137, v136
	v_add_f32_e32 v133, v133, v138
	v_fma_f32 v136, v115, s16, -v136
	v_fma_f32 v138, v114, s17, -v109
	v_mov_b32_e32 v139, v108
	v_fmac_f32_e32 v109, 0xbeb58ec6, v114
	v_sub_f32_e32 v145, v105, v107
	v_add_f32_e32 v143, v143, v147
	v_fmac_f32_e32 v137, 0x3f62ad3f, v115
	v_add_f32_e32 v136, v136, v140
	v_add_f32_e32 v138, v138, v142
	v_fmac_f32_e32 v139, 0xbeb58ec6, v115
	v_add_f32_e32 v140, v109, v50
	v_fma_f32 v50, v115, s17, -v108
	v_add_f32_e32 v142, v104, v106
	v_sub_f32_e32 v144, v104, v106
	v_mul_f32_e32 v104, 0xbe750f2a, v145
	v_add_f32_e32 v137, v137, v141
	v_add_f32_e32 v139, v139, v143
	;; [unrolled: 1-line block ×4, first 2 shown]
	v_fma_f32 v50, v142, s19, -v104
	v_mul_f32_e32 v105, 0xbe750f2a, v144
	v_fmac_f32_e32 v104, 0xbf788fa5, v142
	v_add_f32_e32 v217, v104, v110
	v_fma_f32 v104, v143, s19, -v105
	v_mul_f32_e32 v106, 0x3eedf032, v145
	v_add_f32_e32 v218, v104, v116
	v_fma_f32 v104, v142, s16, -v106
	v_mul_f32_e32 v107, 0x3eedf032, v144
	v_fmac_f32_e32 v106, 0x3f62ad3f, v142
	v_mul_f32_e32 v109, 0xbf29c268, v144
	v_mov_b32_e32 v51, v105
	v_mov_b32_e32 v105, v107
	v_add_f32_e32 v215, v106, v117
	v_fma_f32 v106, v143, s16, -v107
	v_mov_b32_e32 v107, v109
	v_fma_f32 v109, v143, s18, -v109
	v_add_f32_e32 v109, v109, v124
	v_mov_b32_e32 v124, 0x152
	v_cndmask_b32_e64 v124, 0, v124, s[0:1]
	v_mul_f32_e32 v108, 0xbf29c268, v145
	v_add_lshl_u32 v230, v101, v124, 3
	v_add_f32_e32 v216, v106, v120
	v_fma_f32 v106, v142, s18, -v108
	ds_write2_b64 v230, v[76:77], v[80:81] offset1:26
	ds_write2_b64 v230, v[84:85], v[86:87] offset0:52 offset1:78
	ds_write2_b64 v230, v[90:91], v[94:95] offset0:104 offset1:130
	;; [unrolled: 1-line block ×4, first 2 shown]
	v_add_u32_e32 v76, 0x800, v230
	v_fmac_f32_e32 v51, 0xbf788fa5, v143
	v_add_f32_e32 v104, v104, v119
	v_fmac_f32_e32 v105, 0x3f62ad3f, v143
	v_add_f32_e32 v106, v106, v123
	v_fmac_f32_e32 v108, 0xbf3f9e67, v142
	v_mul_f32_e32 v115, 0x3f52af12, v144
	v_mul_f32_e32 v119, 0xbf6f5d39, v144
	;; [unrolled: 1-line block ×3, first 2 shown]
	ds_write2_b64 v76, v[82:83], v[78:79] offset0:4 offset1:30
	ds_write_b64 v230, v[48:49] offset:2496
	v_mul_u32_u24_e32 v48, 0x152, v102
	v_add_f32_e32 v50, v50, v111
	v_add_f32_e32 v51, v51, v118
	;; [unrolled: 1-line block ×4, first 2 shown]
	v_mul_f32_e32 v114, 0x3f52af12, v145
	v_mov_b32_e32 v111, v115
	v_mul_f32_e32 v118, 0xbf6f5d39, v145
	v_mov_b32_e32 v117, v119
	;; [unrolled: 2-line block ×3, first 2 shown]
	v_add_lshl_u32 v231, v48, v103, 3
	v_fmac_f32_e32 v107, 0xbf3f9e67, v143
	v_fma_f32 v110, v142, s7, -v114
	v_fmac_f32_e32 v111, 0x3f116cb1, v143
	v_fmac_f32_e32 v114, 0x3f116cb1, v142
	v_fma_f32 v115, v143, s7, -v115
	v_fma_f32 v116, v142, s17, -v118
	v_fmac_f32_e32 v117, 0xbeb58ec6, v143
	v_fmac_f32_e32 v118, 0xbeb58ec6, v142
	v_fma_f32 v119, v143, s17, -v119
	;; [unrolled: 4-line block ×3, first 2 shown]
	v_add_u32_e32 v48, 0x800, v231
	v_add_f32_e32 v107, v107, v126
	v_add_f32_e32 v110, v110, v127
	;; [unrolled: 1-line block ×13, first 2 shown]
	ds_write2_b64 v231, v[130:131], v[50:51] offset1:26
	ds_write2_b64 v231, v[104:105], v[106:107] offset0:52 offset1:78
	ds_write2_b64 v231, v[110:111], v[116:117] offset0:104 offset1:130
	;; [unrolled: 1-line block ×5, first 2 shown]
	ds_write_b64 v231, v[217:218] offset:2496
	v_add_u32_e32 v48, 0x1c00, v223
	s_waitcnt lgkmcnt(0)
	; wave barrier
	s_waitcnt lgkmcnt(0)
	ds_read2_b64 v[108:111], v223 offset1:52
	ds_read2_b64 v[136:139], v100 offset0:82 offset1:134
	ds_read2_b64 v[140:143], v113 offset0:164 offset1:216
	ds_read2_b64 v[144:147], v48 offset0:118 offset1:170
	ds_read2_b64 v[104:107], v223 offset0:104 offset1:156
	ds_read2_b64 v[132:135], v100 offset0:186 offset1:238
	ds_read2_b64 v[128:131], v98 offset0:12 offset1:64
	ds_read2_b64 v[124:127], v112 offset0:94 offset1:146
	ds_read2_b64 v[100:103], v99 offset0:80 offset1:132
	ds_read2_b64 v[120:123], v113 offset0:34 offset1:86
	ds_read2_b64 v[116:119], v98 offset0:116 offset1:168
	ds_read2_b64 v[112:115], v112 offset0:198 offset1:250
	s_and_saveexec_b64 s[4:5], s[0:1]
	s_xor_b64 s[0:1], exec, s[4:5]
	s_or_saveexec_b64 s[0:1], s[0:1]
	v_add_u32_e32 v238, 0x138, v225
                                        ; implicit-def: $vgpr219
                                        ; implicit-def: $vgpr221
	s_xor_b64 exec, exec, s[0:1]
	s_cbranch_execz .LBB0_3
; %bb.2:
	ds_read_b64 v[215:216], v223 offset:2496
	ds_read_b64 v[217:218], v223 offset:5200
	ds_read_b64 v[221:222], v223 offset:7904
	ds_read_b64 v[219:220], v223 offset:10608
	v_mov_b32_e32 v201, v238
.LBB0_3:
	s_or_b64 exec, exec, s[0:1]
	v_mad_u64_u32 v[48:49], s[0:1], v225, 24, s[14:15]
	s_movk_i32 s0, 0x4e0
	s_movk_i32 s7, 0x1000
	v_add_co_u32_e64 v50, s[0:1], s0, v48
	v_addc_co_u32_e64 v51, s[0:1], 0, v49, s[0:1]
	global_load_dwordx4 v[76:79], v[48:49], off offset:2688
	global_load_dwordx2 v[203:204], v[48:49], off offset:2704
	global_load_dwordx4 v[80:83], v[48:49], off offset:3936
	global_load_dwordx2 v[205:206], v[48:49], off offset:3952
	;; [unrolled: 2-line block ×3, first 2 shown]
	v_add_u32_e32 v50, 0x680, v233
	buffer_store_dword v50, off, s[20:23], 0 offset:20 ; 4-byte Folded Spill
	v_add_u32_e32 v50, 0x9c0, v233
	buffer_store_dword v50, off, s[20:23], 0 offset:16 ; 4-byte Folded Spill
	v_add_co_u32_e64 v50, s[0:1], s7, v48
	v_addc_co_u32_e64 v51, s[0:1], 0, v49, s[0:1]
	v_add_u32_e32 v92, 0xd00, v233
	buffer_store_dword v92, off, s[20:23], 0 offset:28 ; 4-byte Folded Spill
	v_add_u32_e32 v92, 0x1040, v233
	s_movk_i32 s0, 0x1920
	buffer_store_dword v92, off, s[20:23], 0 offset:24 ; 4-byte Folded Spill
	v_add_co_u32_e64 v92, s[0:1], s0, v48
	v_addc_co_u32_e64 v93, s[0:1], 0, v49, s[0:1]
	global_load_dwordx4 v[88:91], v[50:51], off offset:2336
	s_movk_i32 s0, 0x1e00
	global_load_dwordx2 v[209:210], v[92:93], off offset:16
	s_movk_i32 s6, 0x2000
	global_load_dwordx4 v[92:95], v[50:51], off offset:3584
	v_add_co_u32_e64 v50, s[0:1], s0, v48
	v_addc_co_u32_e64 v51, s[0:1], 0, v49, s[0:1]
	global_load_dwordx2 v[213:214], v[50:51], off offset:16
	v_add_co_u32_e64 v50, s[0:1], s6, v48
	s_movk_i32 s4, 0x22e0
	v_addc_co_u32_e64 v51, s[0:1], 0, v49, s[0:1]
	v_add_co_u32_e64 v48, s[0:1], s4, v48
	v_mul_hi_i32_i24_e32 v202, 24, v201
	v_mul_i32_i24_e32 v201, 24, v201
	global_load_dwordx4 v[96:99], v[50:51], off offset:736
	v_addc_co_u32_e64 v49, s[0:1], 0, v49, s[0:1]
	global_load_dwordx2 v[211:212], v[48:49], off offset:16
	v_mov_b32_e32 v50, s15
	v_add_co_u32_e64 v48, s[0:1], s14, v201
	v_addc_co_u32_e64 v49, s[0:1], v50, v202, s[0:1]
	global_load_dwordx2 v[201:202], v[48:49], off offset:2704
	s_nop 0
	global_load_dwordx4 v[48:51], v[48:49], off offset:2688
	v_lshlrev_b32_e32 v243, 4, v238
	v_add_u32_e32 v224, 0x2080, v233
	buffer_store_dword v224, off, s[20:23], 0 offset:40 ; 4-byte Folded Spill
	v_add_u32_e32 v224, 0x23c0, v233
	buffer_store_dword v224, off, s[20:23], 0 offset:36 ; 4-byte Folded Spill
	v_add_u32_e32 v224, 0x2700, v233
	v_add_u32_e32 v242, 0x16c0, v233
	;; [unrolled: 1-line block ×4, first 2 shown]
	buffer_store_dword v224, off, s[20:23], 0 offset:32 ; 4-byte Folded Spill
	s_waitcnt vmcnt(20) lgkmcnt(10)
	v_mul_f32_e32 v236, v136, v77
	s_waitcnt lgkmcnt(9)
	v_mul_f32_e32 v237, v141, v79
	s_waitcnt vmcnt(18)
	v_mul_f32_e32 v250, v142, v83
	v_mul_f32_e32 v249, v143, v83
	v_fmac_f32_e32 v250, v143, v82
	s_waitcnt vmcnt(16) lgkmcnt(6)
	v_mul_f32_e32 v143, v133, v85
	v_fma_f32 v143, v132, v84, -v143
	v_mul_f32_e32 v132, v132, v85
	v_fmac_f32_e32 v132, v133, v84
	s_waitcnt lgkmcnt(5)
	v_mul_f32_e32 v133, v129, v87
	v_fma_f32 v133, v128, v86, -v133
	v_mul_f32_e32 v128, v128, v87
	v_fmac_f32_e32 v128, v129, v86
	s_waitcnt vmcnt(15) lgkmcnt(4)
	v_mul_f32_e32 v129, v125, v208
	v_fma_f32 v129, v124, v207, -v129
	v_mul_f32_e32 v124, v124, v208
	v_mul_f32_e32 v245, v145, v204
	v_fmac_f32_e32 v124, v125, v207
	v_mul_f32_e32 v235, v137, v77
	v_mul_f32_e32 v244, v140, v79
	v_mul_f32_e32 v246, v144, v204
	v_fmac_f32_e32 v236, v137, v76
	s_waitcnt vmcnt(10)
	v_mul_f32_e32 v125, v135, v89
	v_fma_f32 v137, v140, v78, -v237
	v_fma_f32 v140, v144, v203, -v245
	;; [unrolled: 1-line block ×3, first 2 shown]
	v_mul_f32_e32 v134, v134, v89
	v_mul_f32_e32 v125, v131, v91
	;; [unrolled: 1-line block ×4, first 2 shown]
	v_fmac_f32_e32 v134, v135, v88
	v_fma_f32 v135, v130, v90, -v125
	s_waitcnt vmcnt(9)
	v_mul_f32_e32 v125, v127, v210
	v_mul_f32_e32 v247, v139, v81
	v_fmac_f32_e32 v244, v141, v78
	v_fmac_f32_e32 v248, v139, v80
	v_fma_f32 v139, v142, v82, -v249
	v_fma_f32 v141, v146, v205, -v251
	v_mul_f32_e32 v142, v146, v206
	v_fma_f32 v146, v126, v209, -v125
	s_waitcnt vmcnt(8) lgkmcnt(2)
	v_mul_f32_e32 v125, v121, v93
	v_fma_f32 v136, v136, v76, -v235
	v_fma_f32 v235, v120, v92, -v125
	v_mul_f32_e32 v237, v120, v93
	s_waitcnt lgkmcnt(1)
	v_mul_f32_e32 v120, v117, v95
	v_fma_f32 v138, v138, v80, -v247
	v_fma_f32 v245, v116, v94, -v120
	v_mul_f32_e32 v247, v116, v95
	s_waitcnt vmcnt(7) lgkmcnt(0)
	v_mul_f32_e32 v116, v113, v214
	v_fma_f32 v249, v112, v213, -v116
	v_mul_f32_e32 v251, v112, v214
	s_waitcnt vmcnt(6)
	v_mul_f32_e32 v112, v123, v97
	v_fma_f32 v252, v122, v96, -v112
	v_mul_f32_e32 v112, v119, v99
	v_fmac_f32_e32 v246, v145, v203
	v_mul_f32_e32 v145, v130, v91
	v_fma_f32 v254, v118, v98, -v112
	s_waitcnt vmcnt(5)
	v_mul_f32_e32 v112, v115, v212
	v_sub_f32_e32 v130, v104, v133
	v_sub_f32_e32 v129, v143, v129
	v_fmac_f32_e32 v145, v131, v90
	v_fma_f32 v234, v114, v211, -v112
	s_waitcnt vmcnt(3)
	v_mul_f32_e32 v112, v218, v49
	v_sub_f32_e32 v131, v105, v128
	v_fma_f32 v104, v104, 2.0, -v130
	v_sub_f32_e32 v128, v132, v124
	v_fma_f32 v124, v143, 2.0, -v129
	v_fmac_f32_e32 v142, v147, v205
	v_mul_f32_e32 v147, v126, v210
	v_mul_f32_e32 v228, v114, v212
	v_fma_f32 v229, v217, v48, -v112
	v_mul_f32_e32 v112, v222, v51
	v_fma_f32 v105, v105, 2.0, -v131
	v_fma_f32 v125, v132, 2.0, -v128
	v_sub_f32_e32 v124, v104, v124
	v_fmac_f32_e32 v147, v127, v209
	v_fmac_f32_e32 v228, v115, v211
	v_fma_f32 v232, v221, v50, -v112
	v_mul_f32_e32 v112, v220, v202
	v_sub_f32_e32 v116, v108, v137
	v_sub_f32_e32 v115, v136, v140
	;; [unrolled: 1-line block ×3, first 2 shown]
	v_fma_f32 v126, v104, 2.0, -v124
	v_sub_f32_e32 v104, v106, v135
	v_sub_f32_e32 v137, v144, v146
	v_fma_f32 v238, v219, v201, -v112
	v_fma_f32 v112, v108, 2.0, -v116
	v_fma_f32 v108, v136, 2.0, -v115
	;; [unrolled: 1-line block ×3, first 2 shown]
	v_sub_f32_e32 v105, v107, v145
	v_fma_f32 v106, v106, 2.0, -v104
	v_sub_f32_e32 v136, v134, v147
	v_fma_f32 v132, v144, 2.0, -v137
	v_fmac_f32_e32 v237, v121, v92
	v_mul_f32_e32 v253, v122, v97
	v_sub_f32_e32 v122, v110, v139
	v_sub_f32_e32 v121, v138, v141
	v_fma_f32 v107, v107, 2.0, -v105
	v_fma_f32 v133, v134, 2.0, -v136
	v_sub_f32_e32 v132, v106, v132
	v_sub_f32_e32 v136, v104, v136
	v_fmac_f32_e32 v247, v117, v94
	v_fmac_f32_e32 v251, v113, v213
	v_mul_f32_e32 v255, v118, v99
	v_fma_f32 v118, v110, 2.0, -v122
	v_fma_f32 v110, v138, 2.0, -v121
	v_sub_f32_e32 v133, v107, v133
	v_fma_f32 v134, v106, 2.0, -v132
	v_add_f32_e32 v137, v105, v137
	v_fma_f32 v138, v104, 2.0, -v136
	v_sub_f32_e32 v104, v100, v245
	v_sub_f32_e32 v106, v235, v249
	v_fma_f32 v135, v107, 2.0, -v133
	v_fma_f32 v139, v105, 2.0, -v137
	v_sub_f32_e32 v105, v101, v247
	v_fma_f32 v100, v100, 2.0, -v104
	v_sub_f32_e32 v107, v237, v251
	v_fma_f32 v140, v235, 2.0, -v106
	v_fma_f32 v101, v101, 2.0, -v105
	;; [unrolled: 1-line block ×3, first 2 shown]
	v_sub_f32_e32 v140, v100, v140
	v_sub_f32_e32 v144, v104, v107
	v_fmac_f32_e32 v253, v123, v96
	v_fmac_f32_e32 v255, v119, v98
	v_sub_f32_e32 v120, v248, v142
	v_sub_f32_e32 v141, v101, v141
	v_fma_f32 v142, v100, 2.0, -v140
	v_add_f32_e32 v145, v105, v106
	v_fma_f32 v146, v104, 2.0, -v144
	v_sub_f32_e32 v100, v102, v254
	v_sub_f32_e32 v104, v252, v234
	v_mul_f32_e32 v224, v217, v49
	v_mul_f32_e32 v233, v221, v51
	v_mul_f32_e32 v239, v219, v202
	v_sub_f32_e32 v117, v109, v244
	v_sub_f32_e32 v114, v236, v246
	v_fma_f32 v143, v101, 2.0, -v141
	v_fma_f32 v147, v105, 2.0, -v145
	v_sub_f32_e32 v101, v103, v255
	v_fma_f32 v102, v102, 2.0, -v100
	v_sub_f32_e32 v105, v253, v228
	v_fma_f32 v106, v252, 2.0, -v104
	v_fmac_f32_e32 v224, v218, v48
	v_fmac_f32_e32 v233, v222, v50
	;; [unrolled: 1-line block ×3, first 2 shown]
	v_fma_f32 v113, v109, 2.0, -v117
	v_fma_f32 v109, v236, 2.0, -v114
	v_sub_f32_e32 v123, v111, v250
	v_fma_f32 v103, v103, 2.0, -v101
	v_fma_f32 v107, v253, 2.0, -v105
	v_sub_f32_e32 v217, v102, v106
	v_sub_f32_e32 v221, v100, v105
	;; [unrolled: 1-line block ×5, first 2 shown]
	v_add_f32_e32 v115, v117, v115
	v_fma_f32 v119, v111, 2.0, -v123
	v_fma_f32 v111, v248, 2.0, -v120
	v_sub_f32_e32 v218, v103, v107
	v_fma_f32 v219, v102, 2.0, -v217
	v_add_f32_e32 v222, v101, v104
	v_fma_f32 v235, v100, 2.0, -v221
	v_sub_f32_e32 v100, v215, v232
	v_sub_f32_e32 v102, v216, v233
	;; [unrolled: 1-line block ×4, first 2 shown]
	v_fma_f32 v112, v112, 2.0, -v108
	v_fma_f32 v113, v113, 2.0, -v109
	;; [unrolled: 1-line block ×4, first 2 shown]
	v_sub_f32_e32 v110, v118, v110
	v_sub_f32_e32 v111, v119, v111
	;; [unrolled: 1-line block ×3, first 2 shown]
	v_add_f32_e32 v121, v123, v121
	v_sub_f32_e32 v128, v130, v128
	v_add_f32_e32 v129, v131, v129
	v_fma_f32 v220, v103, 2.0, -v218
	v_fma_f32 v236, v101, 2.0, -v222
	;; [unrolled: 1-line block ×12, first 2 shown]
	v_sub_f32_e32 v106, v101, v106
	v_sub_f32_e32 v107, v103, v107
	;; [unrolled: 1-line block ×3, first 2 shown]
	v_add_f32_e32 v105, v102, v105
	ds_write_b64 v223, v[116:117] offset:2704
	ds_write_b64 v223, v[108:109] offset:5408
	;; [unrolled: 1-line block ×3, first 2 shown]
	ds_write2_b64 v223, v[112:113], v[118:119] offset1:52
	ds_write_b64 v223, v[110:111] offset:5824
	v_add_u32_e32 v111, 0x800, v223
	v_add_u32_e32 v110, 0x2000, v223
	;; [unrolled: 1-line block ×5, first 2 shown]
	ds_write2_b64 v111, v[122:123], v[130:131] offset0:134 offset1:186
	ds_write2_b64 v110, v[120:121], v[128:129] offset0:42 offset1:94
	;; [unrolled: 1-line block ×4, first 2 shown]
	ds_write_b64 v223, v[136:137] offset:9360
	ds_write2_b64 v117, v[138:139], v[146:147] offset0:110 offset1:162
	ds_write2_b64 v113, v[142:143], v[219:220] offset0:80 offset1:132
	ds_write_b64 v223, v[235:236] offset:4784
	ds_write2_b64 v112, v[140:141], v[217:218] offset0:116 offset1:168
	ds_write2_b64 v110, v[144:145], v[221:222] offset0:198 offset1:250
	s_and_saveexec_b64 s[0:1], vcc
	s_cbranch_execz .LBB0_5
; %bb.4:
	v_fma_f32 v109, v102, 2.0, -v105
	v_fma_f32 v102, v103, 2.0, -v107
	v_fma_f32 v101, v101, 2.0, -v106
	v_fma_f32 v108, v100, 2.0, -v104
	ds_write_b64 v223, v[101:102] offset:2496
	ds_write_b64 v223, v[108:109] offset:5200
	;; [unrolled: 1-line block ×4, first 2 shown]
.LBB0_5:
	s_or_b64 exec, exec, s[0:1]
	s_add_u32 s4, s12, 0x2a40
	s_addc_u32 s5, s13, 0
	v_lshlrev_b32_e32 v118, 3, v225
	v_add_co_u32_e64 v129, s[0:1], s4, v118
	v_mov_b32_e32 v100, s5
	s_waitcnt lgkmcnt(0)
	; wave barrier
	s_waitcnt lgkmcnt(0)
	v_addc_co_u32_e64 v130, s[0:1], 0, v100, s[0:1]
	global_load_dwordx2 v[100:101], v118, s[4:5]
	v_add_co_u32_e64 v108, s[0:1], s7, v129
	v_addc_co_u32_e64 v109, s[0:1], 0, v130, s[0:1]
	global_load_dwordx2 v[115:116], v[108:109], off offset:1312
	ds_read2_b64 v[119:122], v223 offset1:52
	v_add_u32_e32 v114, 0x1000, v223
	s_mov_b32 s7, 0xbf788fa5
	s_waitcnt vmcnt(1) lgkmcnt(0)
	v_mul_f32_e32 v102, v120, v101
	v_mul_f32_e32 v103, v119, v101
	v_fma_f32 v102, v119, v100, -v102
	v_fmac_f32_e32 v103, v120, v100
	ds_write_b64 v223, v[102:103]
	ds_read2_b64 v[100:103], v114 offset0:112 offset1:164
	s_waitcnt vmcnt(0) lgkmcnt(0)
	v_mul_f32_e32 v119, v103, v116
	v_mul_f32_e32 v124, v102, v116
	v_fma_f32 v123, v102, v115, -v119
	v_fmac_f32_e32 v124, v103, v115
	global_load_dwordx2 v[102:103], v118, s[4:5] offset:416
	v_add_u32_e32 v116, 0x1400, v223
	s_waitcnt vmcnt(0)
	v_mul_f32_e32 v115, v122, v103
	v_mul_f32_e32 v128, v121, v103
	v_fma_f32 v127, v121, v102, -v115
	v_fmac_f32_e32 v128, v122, v102
	global_load_dwordx2 v[102:103], v[108:109], off offset:1728
	ds_read2_b64 v[119:122], v116 offset0:88 offset1:140
	s_waitcnt vmcnt(0) lgkmcnt(0)
	v_mul_f32_e32 v115, v120, v103
	v_mul_f32_e32 v126, v119, v103
	v_fma_f32 v125, v119, v102, -v115
	v_fmac_f32_e32 v126, v120, v102
	global_load_dwordx2 v[102:103], v118, s[4:5] offset:832
	ds_write2_b64 v114, v[123:124], v[125:126] offset0:164 offset1:216
	ds_read2_b64 v[123:126], v223 offset0:104 offset1:156
	s_waitcnt vmcnt(0) lgkmcnt(0)
	v_mul_f32_e32 v115, v124, v103
	v_mul_f32_e32 v120, v123, v103
	v_fma_f32 v119, v123, v102, -v115
	v_fmac_f32_e32 v120, v124, v102
	global_load_dwordx2 v[102:103], v[108:109], off offset:2144
	ds_write2_b64 v223, v[127:128], v[119:120] offset0:52 offset1:104
	s_waitcnt vmcnt(0)
	v_mul_f32_e32 v115, v122, v103
	v_mul_f32_e32 v124, v121, v103
	v_fma_f32 v123, v121, v102, -v115
	v_fmac_f32_e32 v124, v122, v102
	global_load_dwordx2 v[102:103], v118, s[4:5] offset:1248
	ds_read2_b64 v[119:122], v112 offset0:64 offset1:116
	s_waitcnt vmcnt(0)
	v_mul_f32_e32 v115, v126, v103
	v_mul_f32_e32 v128, v125, v103
	v_fma_f32 v127, v125, v102, -v115
	v_fmac_f32_e32 v128, v126, v102
	buffer_load_dword v102, off, s[20:23], 0 offset:12 ; 4-byte Folded Reload
	s_waitcnt vmcnt(0)
	global_load_dwordx2 v[102:103], v102, s[4:5]
	s_waitcnt vmcnt(0) lgkmcnt(0)
	v_mul_f32_e32 v115, v120, v103
	v_mul_f32_e32 v126, v119, v103
	v_fma_f32 v125, v119, v102, -v115
	v_fmac_f32_e32 v126, v120, v102
	global_load_dwordx2 v[102:103], v118, s[4:5] offset:1664
	ds_write2_b64 v112, v[123:124], v[125:126] offset0:12 offset1:64
	ds_read2_b64 v[123:126], v113 offset0:80 offset1:132
	s_waitcnt vmcnt(0) lgkmcnt(0)
	v_mul_f32_e32 v115, v124, v103
	v_mul_f32_e32 v120, v123, v103
	v_fma_f32 v119, v123, v102, -v115
	v_fmac_f32_e32 v120, v124, v102
	global_load_dwordx2 v[102:103], v[108:109], off offset:2976
	ds_write2_b64 v223, v[127:128], v[119:120] offset0:156 offset1:208
	s_waitcnt vmcnt(0)
	v_mul_f32_e32 v115, v122, v103
	v_mul_f32_e32 v124, v121, v103
	v_fma_f32 v123, v121, v102, -v115
	v_fmac_f32_e32 v124, v122, v102
	global_load_dwordx2 v[102:103], v118, s[4:5] offset:2080
	ds_read2_b64 v[119:122], v112 offset0:168 offset1:220
	s_waitcnt vmcnt(0)
	v_mul_f32_e32 v115, v126, v103
	v_mul_f32_e32 v128, v125, v103
	v_fma_f32 v127, v125, v102, -v115
	v_fmac_f32_e32 v128, v126, v102
	global_load_dwordx2 v[102:103], v[108:109], off offset:3392
	s_waitcnt vmcnt(0) lgkmcnt(0)
	v_mul_f32_e32 v115, v120, v103
	v_mul_f32_e32 v126, v119, v103
	v_fma_f32 v125, v119, v102, -v115
	v_fmac_f32_e32 v126, v120, v102
	global_load_dwordx2 v[102:103], v118, s[4:5] offset:2496
	ds_write2_b64 v112, v[123:124], v[125:126] offset0:116 offset1:168
	ds_read2_b64 v[123:126], v111 offset0:56 offset1:108
	s_waitcnt vmcnt(0) lgkmcnt(0)
	v_mul_f32_e32 v115, v124, v103
	v_mul_f32_e32 v120, v123, v103
	v_fma_f32 v119, v123, v102, -v115
	v_fmac_f32_e32 v120, v124, v102
	global_load_dwordx2 v[102:103], v[108:109], off offset:3808
	ds_write2_b64 v111, v[127:128], v[119:120] offset0:4 offset1:56
	s_waitcnt vmcnt(0)
	v_mul_f32_e32 v115, v122, v103
	v_mul_f32_e32 v124, v121, v103
	v_fma_f32 v123, v121, v102, -v115
	v_fmac_f32_e32 v124, v122, v102
	global_load_dwordx2 v[102:103], v118, s[4:5] offset:2912
	ds_read2_b64 v[119:122], v110 offset0:16 offset1:68
	s_waitcnt vmcnt(0)
	v_mul_f32_e32 v115, v126, v103
	v_mul_f32_e32 v128, v125, v103
	v_fma_f32 v127, v125, v102, -v115
	v_fmac_f32_e32 v128, v126, v102
	v_add_co_u32_e64 v102, s[0:1], s6, v129
	v_addc_co_u32_e64 v103, s[0:1], 0, v130, s[0:1]
	global_load_dwordx2 v[125:126], v[102:103], off offset:128
	s_mov_b32 s1, 0x3f116cb1
	s_mov_b32 s0, 0x3df6dbef
	;; [unrolled: 1-line block ×3, first 2 shown]
	s_waitcnt vmcnt(0) lgkmcnt(0)
	v_mul_f32_e32 v115, v120, v126
	v_mul_f32_e32 v130, v119, v126
	v_fma_f32 v129, v119, v125, -v115
	v_fmac_f32_e32 v130, v120, v125
	global_load_dwordx2 v[119:120], v118, s[4:5] offset:3328
	v_add_u32_e32 v115, 0x1c00, v223
	ds_write2_b64 v115, v[123:124], v[129:130] offset0:92 offset1:144
	ds_read2_b64 v[123:126], v111 offset0:160 offset1:212
	s_waitcnt vmcnt(0) lgkmcnt(0)
	v_mul_f32_e32 v129, v124, v120
	v_mul_f32_e32 v130, v123, v120
	v_fma_f32 v129, v123, v119, -v129
	v_fmac_f32_e32 v130, v124, v119
	global_load_dwordx2 v[119:120], v[102:103], off offset:544
	ds_write2_b64 v111, v[127:128], v[129:130] offset0:108 offset1:160
	s_waitcnt vmcnt(0)
	v_mul_f32_e32 v123, v122, v120
	v_mul_f32_e32 v124, v121, v120
	v_fma_f32 v123, v121, v119, -v123
	v_fmac_f32_e32 v124, v122, v119
	global_load_dwordx2 v[118:119], v118, s[4:5] offset:3744
	s_mov_b32 s4, 0x3f62ad3f
	s_mov_b32 s5, 0xbeb58ec6
	s_waitcnt vmcnt(0)
	v_mul_f32_e32 v120, v126, v119
	v_mul_f32_e32 v128, v125, v119
	v_fma_f32 v127, v125, v118, -v120
	v_fmac_f32_e32 v128, v126, v118
	global_load_dwordx2 v[125:126], v[102:103], off offset:960
	ds_read2_b64 v[118:121], v110 offset0:120 offset1:172
	s_waitcnt vmcnt(0) lgkmcnt(0)
	v_mul_f32_e32 v122, v119, v126
	v_mul_f32_e32 v130, v118, v126
	v_fma_f32 v129, v118, v125, -v122
	v_fmac_f32_e32 v130, v119, v125
	global_load_dwordx2 v[118:119], v[108:109], off offset:64
	ds_write2_b64 v110, v[123:124], v[129:130] offset0:68 offset1:120
	ds_read2_b64 v[122:125], v114 offset0:8 offset1:60
	s_waitcnt vmcnt(0) lgkmcnt(0)
	v_mul_f32_e32 v126, v123, v119
	v_mul_f32_e32 v130, v122, v119
	v_fma_f32 v129, v122, v118, -v126
	v_fmac_f32_e32 v130, v123, v118
	ds_write2_b64 v117, v[127:128], v[129:130] offset0:84 offset1:136
	global_load_dwordx2 v[117:118], v[102:103], off offset:1376
	s_waitcnt vmcnt(0)
	v_mul_f32_e32 v119, v121, v118
	v_mul_f32_e32 v123, v120, v118
	v_fma_f32 v122, v120, v117, -v119
	v_fmac_f32_e32 v123, v121, v117
	global_load_dwordx2 v[117:118], v[108:109], off offset:480
	s_waitcnt vmcnt(0)
	v_mul_f32_e32 v119, v125, v118
	v_mul_f32_e32 v127, v124, v118
	v_fma_f32 v126, v124, v117, -v119
	v_fmac_f32_e32 v127, v125, v117
	global_load_dwordx2 v[124:125], v[102:103], off offset:1792
	v_add_u32_e32 v117, 0x2400, v223
	global_load_dwordx2 v[108:109], v[108:109], off offset:896
	ds_read2_b64 v[118:121], v117 offset0:96 offset1:148
	s_waitcnt vmcnt(1) lgkmcnt(0)
	v_mul_f32_e32 v128, v119, v125
	v_mul_f32_e32 v129, v118, v125
	v_fma_f32 v128, v118, v124, -v128
	v_fmac_f32_e32 v129, v119, v124
	s_waitcnt vmcnt(0)
	v_mul_f32_e32 v118, v101, v109
	v_mul_f32_e32 v119, v100, v109
	v_fma_f32 v118, v100, v108, -v118
	v_fmac_f32_e32 v119, v101, v108
	global_load_dwordx2 v[100:101], v[102:103], off offset:2208
	ds_write2_b64 v110, v[122:123], v[128:129] offset0:172 offset1:224
	ds_write2_b64 v114, v[126:127], v[118:119] offset0:60 offset1:112
	s_waitcnt vmcnt(0)
	v_mul_f32_e32 v102, v121, v101
	v_mul_f32_e32 v103, v120, v101
	v_fma_f32 v102, v120, v100, -v102
	v_fmac_f32_e32 v103, v121, v100
	ds_write_b64 v223, v[102:103] offset:10400
	s_waitcnt lgkmcnt(0)
	; wave barrier
	s_waitcnt lgkmcnt(0)
	ds_read2_b64 v[100:103], v223 offset1:52
	ds_read2_b64 v[118:121], v114 offset0:112 offset1:164
	ds_read2_b64 v[122:125], v116 offset0:88 offset1:140
	;; [unrolled: 1-line block ×12, first 2 shown]
	s_waitcnt lgkmcnt(0)
	; wave barrier
	s_waitcnt lgkmcnt(0)
	buffer_load_dword v108, off, s[20:23], 0 offset:4 ; 4-byte Folded Reload
	v_sub_f32_e32 v236, v100, v120
	v_sub_f32_e32 v237, v101, v121
	v_fma_f32 v234, v100, 2.0, -v236
	v_fma_f32 v235, v101, 2.0, -v237
	v_sub_f32_e32 v122, v102, v122
	v_sub_f32_e32 v123, v103, v123
	v_fma_f32 v120, v102, 2.0, -v122
	v_fma_f32 v121, v103, 2.0, -v123
	;; [unrolled: 4-line block ×5, first 2 shown]
	v_sub_f32_e32 v134, v136, v138
	v_sub_f32_e32 v135, v137, v139
	;; [unrolled: 1-line block ×4, first 2 shown]
	v_fma_f32 v132, v136, 2.0, -v134
	v_fma_f32 v133, v137, 2.0, -v135
	;; [unrolled: 1-line block ×4, first 2 shown]
	v_sub_f32_e32 v142, v144, v215
	v_sub_f32_e32 v143, v145, v216
	;; [unrolled: 1-line block ×6, first 2 shown]
	v_fma_f32 v140, v144, 2.0, -v142
	v_fma_f32 v141, v145, 2.0, -v143
	;; [unrolled: 1-line block ×6, first 2 shown]
	v_sub_f32_e32 v221, v248, v246
	v_sub_f32_e32 v222, v249, v247
	v_fma_f32 v219, v248, 2.0, -v221
	v_fma_f32 v220, v249, 2.0, -v222
	v_sub_f32_e32 v246, v250, v252
	v_sub_f32_e32 v247, v251, v253
	v_fma_f32 v244, v250, 2.0, -v246
	v_fma_f32 v245, v251, 2.0, -v247
	;; [unrolled: 4-line block ×3, first 2 shown]
	s_waitcnt vmcnt(0)
	ds_write_b128 v108, v[234:237]
	buffer_load_dword v108, off, s[20:23], 0 offset:8 ; 4-byte Folded Reload
	s_waitcnt vmcnt(0)
	ds_write_b128 v108, v[120:123]
	buffer_load_dword v108, off, s[20:23], 0 offset:20 ; 4-byte Folded Reload
	;; [unrolled: 3-line block ×5, first 2 shown]
	s_waitcnt vmcnt(0)
	ds_write_b128 v100, v[132:135]
	ds_write_b128 v243, v[136:139]
	;; [unrolled: 1-line block ×5, first 2 shown]
	buffer_load_dword v100, off, s[20:23], 0 offset:40 ; 4-byte Folded Reload
	s_waitcnt vmcnt(0)
	ds_write_b128 v100, v[219:222]
	buffer_load_dword v100, off, s[20:23], 0 offset:36 ; 4-byte Folded Reload
	s_waitcnt vmcnt(0)
	ds_write_b128 v100, v[244:247]
	;; [unrolled: 3-line block ×3, first 2 shown]
	s_waitcnt lgkmcnt(0)
	; wave barrier
	s_waitcnt lgkmcnt(0)
	ds_read2_b64 v[100:103], v223 offset1:52
	ds_read2_b64 v[118:121], v223 offset0:104 offset1:156
	ds_read2_b64 v[122:125], v113 offset0:80 offset1:132
	;; [unrolled: 1-line block ×12, first 2 shown]
	s_waitcnt lgkmcnt(11)
	v_mul_f32_e32 v108, v17, v118
	v_fma_f32 v224, v16, v119, -v108
	s_waitcnt lgkmcnt(10)
	v_mul_f32_e32 v108, v19, v122
	v_fma_f32 v229, v18, v123, -v108
	s_waitcnt lgkmcnt(9)
	v_mul_f32_e32 v108, v9, v126
	v_mul_f32_e32 v147, v17, v119
	v_fma_f32 v245, v8, v127, -v108
	s_waitcnt lgkmcnt(8)
	v_mul_f32_e32 v108, v11, v130
	v_fmac_f32_e32 v147, v16, v118
	v_fma_f32 v247, v10, v131, -v108
	s_waitcnt lgkmcnt(7)
	v_mul_f32_e32 v108, v5, v134
	s_waitcnt lgkmcnt(5)
	v_mul_f32_e32 v142, v1, v144
	v_mul_f32_e32 v118, v1, v143
	v_fma_f32 v249, v4, v135, -v108
	v_mul_f32_e32 v108, v7, v139
	v_fmac_f32_e32 v142, v0, v143
	v_fma_f32 v143, v0, v144, -v118
	s_waitcnt lgkmcnt(4)
	v_mul_f32_e32 v144, v3, v216
	v_mul_f32_e32 v118, v3, v215
	v_fmac_f32_e32 v108, v6, v138
	v_mul_f32_e32 v109, v7, v138
	v_fmac_f32_e32 v144, v2, v215
	v_fma_f32 v215, v2, v216, -v118
	s_waitcnt lgkmcnt(3)
	v_mul_f32_e32 v216, v21, v220
	v_mul_f32_e32 v118, v21, v219
	;; [unrolled: 1-line block ×3, first 2 shown]
	v_fmac_f32_e32 v216, v20, v219
	v_fma_f32 v219, v20, v220, -v118
	s_waitcnt lgkmcnt(2)
	v_mul_f32_e32 v220, v23, v233
	v_mul_f32_e32 v118, v23, v232
	v_fmac_f32_e32 v138, v16, v120
	v_mul_f32_e32 v17, v17, v120
	v_mul_f32_e32 v120, v1, v146
	v_mul_f32_e32 v1, v1, v145
	v_mul_f32_e32 v246, v11, v131
	v_mul_f32_e32 v248, v5, v135
	v_fma_f32 v109, v6, v139, -v109
	v_fmac_f32_e32 v220, v22, v232
	v_fma_f32 v232, v22, v233, -v118
	s_waitcnt lgkmcnt(1)
	v_mul_f32_e32 v233, v13, v237
	v_mul_f32_e32 v118, v13, v236
	v_fma_f32 v139, v16, v121, -v17
	v_mul_f32_e32 v16, v19, v124
	v_fmac_f32_e32 v120, v0, v145
	v_fma_f32 v121, v0, v146, -v1
	v_mul_f32_e32 v0, v3, v217
	v_mul_f32_e32 v228, v19, v123
	;; [unrolled: 1-line block ×3, first 2 shown]
	v_fmac_f32_e32 v246, v10, v130
	v_fmac_f32_e32 v248, v4, v134
	;; [unrolled: 1-line block ×3, first 2 shown]
	v_fma_f32 v236, v12, v237, -v118
	s_waitcnt lgkmcnt(0)
	v_mul_f32_e32 v237, v15, v241
	v_mul_f32_e32 v118, v15, v240
	v_mul_f32_e32 v134, v19, v125
	v_fma_f32 v135, v18, v125, -v16
	v_mul_f32_e32 v130, v9, v129
	v_mul_f32_e32 v9, v9, v128
	v_fma_f32 v125, v2, v218, -v0
	v_mul_f32_e32 v0, v21, v221
	v_fmac_f32_e32 v228, v18, v122
	v_fmac_f32_e32 v244, v8, v126
	;; [unrolled: 1-line block ×3, first 2 shown]
	v_fma_f32 v240, v14, v241, -v118
	v_fmac_f32_e32 v130, v8, v128
	v_fma_f32 v131, v8, v129, -v9
	v_mul_f32_e32 v8, v11, v132
	v_mul_f32_e32 v122, v5, v137
	v_fma_f32 v129, v20, v222, -v0
	v_mul_f32_e32 v0, v23, v234
	v_fmac_f32_e32 v134, v18, v124
	v_mul_f32_e32 v126, v11, v133
	v_fma_f32 v127, v10, v133, -v8
	v_fmac_f32_e32 v122, v4, v136
	v_mul_f32_e32 v5, v5, v136
	v_mul_f32_e32 v124, v3, v218
	;; [unrolled: 1-line block ×3, first 2 shown]
	v_fma_f32 v133, v22, v235, -v0
	v_mul_f32_e32 v136, v13, v239
	v_mul_f32_e32 v0, v13, v238
	v_add_f32_e32 v3, v224, v240
	v_fma_f32 v123, v4, v137, -v5
	v_mul_f32_e32 v4, v7, v140
	v_fmac_f32_e32 v128, v20, v221
	v_fmac_f32_e32 v136, v12, v238
	v_fma_f32 v137, v12, v239, -v0
	v_mul_f32_e32 v8, 0x3f62ad3f, v3
	v_mul_f32_e32 v12, 0x3f116cb1, v3
	;; [unrolled: 1-line block ×6, first 2 shown]
	v_fma_f32 v119, v6, v141, -v4
	v_fmac_f32_e32 v124, v2, v217
	v_sub_f32_e32 v4, v147, v237
	v_mov_b32_e32 v9, v8
	v_mov_b32_e32 v13, v12
	v_mov_b32_e32 v17, v16
	v_mov_b32_e32 v21, v20
	v_mov_b32_e32 v146, v145
	v_mov_b32_e32 v217, v3
	v_mul_f32_e32 v118, v7, v141
	v_sub_f32_e32 v5, v224, v240
	v_fmac_f32_e32 v9, 0x3eedf032, v4
	v_fmac_f32_e32 v8, 0xbeedf032, v4
	;; [unrolled: 1-line block ×14, first 2 shown]
	v_mul_f32_e32 v132, v23, v235
	v_mul_f32_e32 v140, v15, v243
	;; [unrolled: 1-line block ×3, first 2 shown]
	v_add_f32_e32 v1, v101, v224
	v_mul_f32_e32 v6, 0xbeedf032, v5
	v_add_f32_e32 v9, v101, v9
	v_add_f32_e32 v8, v101, v8
	;; [unrolled: 1-line block ×12, first 2 shown]
	v_sub_f32_e32 v101, v229, v236
	v_fmac_f32_e32 v132, v22, v234
	v_fmac_f32_e32 v140, v14, v242
	v_fma_f32 v141, v14, v243, -v0
	v_add_f32_e32 v2, v147, v237
	v_mov_b32_e32 v7, v6
	v_mul_f32_e32 v10, 0xbf52af12, v5
	v_mul_f32_e32 v14, 0xbf7e222b, v5
	;; [unrolled: 1-line block ×6, first 2 shown]
	v_add_f32_e32 v0, v100, v147
	v_fmac_f32_e32 v7, 0x3f62ad3f, v2
	v_mov_b32_e32 v11, v10
	v_mov_b32_e32 v15, v14
	;; [unrolled: 1-line block ×5, first 2 shown]
	v_add_f32_e32 v4, v228, v233
	v_mov_b32_e32 v221, v218
	v_add_f32_e32 v7, v100, v7
	v_fma_f32 v6, v2, s4, -v6
	v_fmac_f32_e32 v11, 0x3f116cb1, v2
	v_fma_f32 v10, v2, s1, -v10
	v_fmac_f32_e32 v15, 0x3df6dbef, v2
	;; [unrolled: 2-line block ×5, first 2 shown]
	v_fma_f32 v2, v2, s7, -v5
	v_add_f32_e32 v5, v229, v236
	v_fmac_f32_e32 v221, 0x3f116cb1, v4
	v_add_f32_e32 v6, v100, v6
	v_add_f32_e32 v11, v100, v11
	;; [unrolled: 1-line block ×11, first 2 shown]
	v_sub_f32_e32 v100, v228, v233
	v_add_f32_e32 v7, v221, v7
	v_mul_f32_e32 v221, 0x3f116cb1, v5
	v_fma_f32 v218, v4, s1, -v218
	v_mov_b32_e32 v222, v221
	v_add_f32_e32 v6, v218, v6
	v_fmac_f32_e32 v221, 0xbf52af12, v100
	v_mul_f32_e32 v218, 0xbf6f5d39, v101
	v_add_f32_e32 v8, v221, v8
	v_mov_b32_e32 v221, v218
	v_fmac_f32_e32 v221, 0xbeb58ec6, v4
	v_fmac_f32_e32 v222, 0x3f52af12, v100
	v_add_f32_e32 v11, v221, v11
	v_mul_f32_e32 v221, 0xbeb58ec6, v5
	v_fma_f32 v218, v4, s5, -v218
	v_add_f32_e32 v9, v222, v9
	v_mov_b32_e32 v222, v221
	v_add_f32_e32 v10, v218, v10
	v_fmac_f32_e32 v221, 0xbf6f5d39, v100
	v_mul_f32_e32 v218, 0xbe750f2a, v101
	v_add_f32_e32 v12, v221, v12
	v_mov_b32_e32 v221, v218
	v_fmac_f32_e32 v221, 0xbf788fa5, v4
	v_fmac_f32_e32 v222, 0x3f6f5d39, v100
	v_add_f32_e32 v15, v221, v15
	v_mul_f32_e32 v221, 0xbf788fa5, v5
	v_fma_f32 v218, v4, s7, -v218
	v_add_f32_e32 v13, v222, v13
	v_mov_b32_e32 v222, v221
	v_add_f32_e32 v14, v218, v14
	v_fmac_f32_e32 v221, 0xbe750f2a, v100
	v_mul_f32_e32 v218, 0x3f29c268, v101
	v_add_f32_e32 v16, v221, v16
	v_mov_b32_e32 v221, v218
	v_fmac_f32_e32 v221, 0xbf3f9e67, v4
	v_add_f32_e32 v0, v0, v228
	v_fmac_f32_e32 v222, 0x3e750f2a, v100
	v_add_f32_e32 v19, v221, v19
	v_mul_f32_e32 v221, 0xbf3f9e67, v5
	v_fma_f32 v218, v4, s6, -v218
	v_add_f32_e32 v0, v0, v244
	v_add_f32_e32 v17, v222, v17
	v_mov_b32_e32 v222, v221
	v_add_f32_e32 v18, v218, v18
	v_fmac_f32_e32 v221, 0x3f29c268, v100
	v_mul_f32_e32 v218, 0x3f7e222b, v101
	v_add_f32_e32 v0, v0, v246
	v_add_f32_e32 v20, v221, v20
	v_mov_b32_e32 v221, v218
	v_fma_f32 v218, v4, s0, -v218
	v_mul_f32_e32 v101, 0x3eedf032, v101
	v_add_f32_e32 v0, v0, v248
	v_fmac_f32_e32 v221, 0x3df6dbef, v4
	v_add_f32_e32 v22, v218, v22
	v_mov_b32_e32 v218, v101
	v_add_f32_e32 v0, v0, v108
	v_add_f32_e32 v23, v221, v23
	v_mul_f32_e32 v221, 0x3df6dbef, v5
	v_fmac_f32_e32 v218, 0x3f62ad3f, v4
	v_mul_f32_e32 v5, 0x3f62ad3f, v5
	v_add_f32_e32 v0, v0, v142
	v_add_f32_e32 v147, v218, v147
	v_mov_b32_e32 v218, v5
	v_add_f32_e32 v0, v0, v144
	v_fmac_f32_e32 v222, 0xbf29c268, v100
	v_fmac_f32_e32 v218, 0xbeedf032, v100
	v_fma_f32 v4, v4, s4, -v101
	v_sub_f32_e32 v101, v245, v232
	v_add_f32_e32 v0, v0, v216
	v_add_f32_e32 v21, v222, v21
	v_mov_b32_e32 v222, v221
	v_add_f32_e32 v217, v218, v217
	v_mul_f32_e32 v218, 0xbf7e222b, v101
	v_add_f32_e32 v0, v0, v220
	v_fmac_f32_e32 v222, 0xbf7e222b, v100
	v_fmac_f32_e32 v221, 0x3f7e222b, v100
	v_add_f32_e32 v2, v4, v2
	v_fmac_f32_e32 v5, 0x3eedf032, v100
	v_add_f32_e32 v4, v244, v220
	v_sub_f32_e32 v100, v244, v220
	v_mov_b32_e32 v220, v218
	v_add_f32_e32 v3, v5, v3
	v_add_f32_e32 v5, v245, v232
	v_fmac_f32_e32 v220, 0x3df6dbef, v4
	v_add_f32_e32 v7, v220, v7
	v_mul_f32_e32 v220, 0x3df6dbef, v5
	v_fma_f32 v218, v4, s0, -v218
	v_add_f32_e32 v145, v221, v145
	v_mov_b32_e32 v221, v220
	v_add_f32_e32 v6, v218, v6
	v_fmac_f32_e32 v220, 0xbf7e222b, v100
	v_mul_f32_e32 v218, 0xbe750f2a, v101
	v_add_f32_e32 v8, v220, v8
	v_mov_b32_e32 v220, v218
	v_fmac_f32_e32 v220, 0xbf788fa5, v4
	v_fmac_f32_e32 v221, 0x3f7e222b, v100
	v_add_f32_e32 v11, v220, v11
	v_mul_f32_e32 v220, 0xbf788fa5, v5
	v_fma_f32 v218, v4, s7, -v218
	v_add_f32_e32 v9, v221, v9
	v_mov_b32_e32 v221, v220
	v_add_f32_e32 v10, v218, v10
	v_fmac_f32_e32 v220, 0xbe750f2a, v100
	v_mul_f32_e32 v218, 0x3f6f5d39, v101
	v_add_f32_e32 v12, v220, v12
	v_mov_b32_e32 v220, v218
	v_fmac_f32_e32 v220, 0xbeb58ec6, v4
	;; [unrolled: 12-line block ×3, first 2 shown]
	v_fmac_f32_e32 v221, 0xbf6f5d39, v100
	v_add_f32_e32 v19, v220, v19
	v_mul_f32_e32 v220, 0x3f62ad3f, v5
	v_fma_f32 v218, v4, s4, -v218
	v_add_f32_e32 v17, v221, v17
	v_mov_b32_e32 v221, v220
	v_add_f32_e32 v18, v218, v18
	v_fmac_f32_e32 v220, 0x3eedf032, v100
	v_mul_f32_e32 v218, 0xbf52af12, v101
	v_add_f32_e32 v20, v220, v20
	v_mov_b32_e32 v220, v218
	v_fma_f32 v218, v4, s1, -v218
	v_mul_f32_e32 v101, 0xbf29c268, v101
	v_add_f32_e32 v1, v1, v229
	v_fmac_f32_e32 v220, 0x3f116cb1, v4
	v_add_f32_e32 v22, v218, v22
	v_mov_b32_e32 v218, v101
	v_add_f32_e32 v1, v1, v245
	v_fmac_f32_e32 v221, 0xbeedf032, v100
	v_add_f32_e32 v23, v220, v23
	v_mul_f32_e32 v220, 0x3f116cb1, v5
	v_fmac_f32_e32 v218, 0xbf3f9e67, v4
	v_mul_f32_e32 v5, 0xbf3f9e67, v5
	v_add_f32_e32 v1, v1, v247
	v_add_f32_e32 v21, v221, v21
	v_mov_b32_e32 v221, v220
	v_add_f32_e32 v147, v218, v147
	v_mov_b32_e32 v218, v5
	v_fma_f32 v4, v4, s6, -v101
	v_sub_f32_e32 v101, v247, v219
	v_add_f32_e32 v1, v1, v249
	v_fmac_f32_e32 v221, 0x3f52af12, v100
	v_fmac_f32_e32 v220, 0xbf52af12, v100
	;; [unrolled: 1-line block ×3, first 2 shown]
	v_add_f32_e32 v2, v4, v2
	v_fmac_f32_e32 v5, 0xbf29c268, v100
	v_add_f32_e32 v4, v246, v216
	v_sub_f32_e32 v100, v246, v216
	v_mul_f32_e32 v216, 0xbf6f5d39, v101
	v_add_f32_e32 v1, v1, v109
	v_add_f32_e32 v217, v218, v217
	v_mov_b32_e32 v218, v216
	v_add_f32_e32 v1, v1, v143
	v_add_f32_e32 v3, v5, v3
	;; [unrolled: 1-line block ×3, first 2 shown]
	v_fmac_f32_e32 v218, 0xbeb58ec6, v4
	v_add_f32_e32 v1, v1, v215
	v_add_f32_e32 v7, v218, v7
	v_mul_f32_e32 v218, 0xbeb58ec6, v5
	v_fma_f32 v216, v4, s5, -v216
	v_add_f32_e32 v1, v1, v219
	v_mov_b32_e32 v219, v218
	v_add_f32_e32 v6, v216, v6
	v_fmac_f32_e32 v218, 0xbf6f5d39, v100
	v_mul_f32_e32 v216, 0x3f29c268, v101
	v_add_f32_e32 v8, v218, v8
	v_mov_b32_e32 v218, v216
	v_fmac_f32_e32 v218, 0xbf3f9e67, v4
	v_fmac_f32_e32 v219, 0x3f6f5d39, v100
	v_add_f32_e32 v11, v218, v11
	v_mul_f32_e32 v218, 0xbf3f9e67, v5
	v_fma_f32 v216, v4, s6, -v216
	v_add_f32_e32 v9, v219, v9
	v_mov_b32_e32 v219, v218
	v_add_f32_e32 v10, v216, v10
	v_fmac_f32_e32 v218, 0x3f29c268, v100
	v_mul_f32_e32 v216, 0x3eedf032, v101
	v_add_f32_e32 v12, v218, v12
	v_mov_b32_e32 v218, v216
	v_fmac_f32_e32 v218, 0x3f62ad3f, v4
	v_fmac_f32_e32 v219, 0xbf29c268, v100
	;; [unrolled: 12-line block ×3, first 2 shown]
	v_add_f32_e32 v19, v218, v19
	v_mul_f32_e32 v218, 0x3df6dbef, v5
	v_fma_f32 v216, v4, s0, -v216
	v_add_f32_e32 v17, v219, v17
	v_mov_b32_e32 v219, v218
	v_add_f32_e32 v18, v216, v18
	v_fmac_f32_e32 v218, 0xbf7e222b, v100
	v_mul_f32_e32 v216, 0x3e750f2a, v101
	v_add_f32_e32 v20, v218, v20
	v_mov_b32_e32 v218, v216
	v_fma_f32 v216, v4, s7, -v216
	v_mul_f32_e32 v101, 0x3f52af12, v101
	v_fmac_f32_e32 v218, 0xbf788fa5, v4
	v_add_f32_e32 v22, v216, v22
	v_mov_b32_e32 v216, v101
	v_fmac_f32_e32 v219, 0x3f7e222b, v100
	v_add_f32_e32 v23, v218, v23
	v_mul_f32_e32 v218, 0xbf788fa5, v5
	v_fmac_f32_e32 v216, 0x3f116cb1, v4
	v_mul_f32_e32 v5, 0x3f116cb1, v5
	v_add_f32_e32 v21, v219, v21
	v_mov_b32_e32 v219, v218
	v_add_f32_e32 v147, v216, v147
	v_mov_b32_e32 v216, v5
	v_fma_f32 v4, v4, s1, -v101
	v_sub_f32_e32 v101, v249, v215
	v_fmac_f32_e32 v219, 0xbe750f2a, v100
	v_fmac_f32_e32 v218, 0x3e750f2a, v100
	;; [unrolled: 1-line block ×3, first 2 shown]
	v_add_f32_e32 v2, v4, v2
	v_fmac_f32_e32 v5, 0x3f52af12, v100
	v_add_f32_e32 v4, v248, v144
	v_sub_f32_e32 v100, v248, v144
	v_mul_f32_e32 v144, 0xbf29c268, v101
	v_add_f32_e32 v3, v5, v3
	v_add_f32_e32 v5, v249, v215
	v_mov_b32_e32 v215, v144
	v_fmac_f32_e32 v215, 0xbf3f9e67, v4
	v_add_f32_e32 v7, v215, v7
	v_mul_f32_e32 v215, 0xbf3f9e67, v5
	v_fma_f32 v144, v4, s6, -v144
	v_add_f32_e32 v216, v216, v217
	v_mov_b32_e32 v217, v215
	v_add_f32_e32 v144, v144, v6
	v_fmac_f32_e32 v215, 0xbf29c268, v100
	v_mul_f32_e32 v6, 0x3f7e222b, v101
	v_add_f32_e32 v8, v215, v8
	v_mov_b32_e32 v215, v6
	v_fmac_f32_e32 v215, 0x3df6dbef, v4
	v_fmac_f32_e32 v217, 0x3f29c268, v100
	v_add_f32_e32 v11, v215, v11
	v_mul_f32_e32 v215, 0x3df6dbef, v5
	v_add_f32_e32 v9, v217, v9
	v_mov_b32_e32 v217, v215
	v_fmac_f32_e32 v217, 0xbf7e222b, v100
	v_fma_f32 v6, v4, s0, -v6
	v_add_f32_e32 v13, v217, v13
	v_add_f32_e32 v217, v6, v10
	v_mul_f32_e32 v6, 0xbf52af12, v101
	v_mov_b32_e32 v10, v6
	v_fmac_f32_e32 v10, 0x3f116cb1, v4
	v_fmac_f32_e32 v215, 0x3f7e222b, v100
	v_add_f32_e32 v15, v10, v15
	v_mul_f32_e32 v10, 0x3f116cb1, v5
	v_fma_f32 v6, v4, s1, -v6
	v_add_f32_e32 v12, v215, v12
	v_mov_b32_e32 v215, v10
	v_add_f32_e32 v14, v6, v14
	v_fmac_f32_e32 v10, 0xbf52af12, v100
	v_mul_f32_e32 v6, 0x3e750f2a, v101
	v_add_f32_e32 v16, v10, v16
	v_mov_b32_e32 v10, v6
	v_fmac_f32_e32 v10, 0xbf788fa5, v4
	v_fmac_f32_e32 v215, 0x3f52af12, v100
	v_add_f32_e32 v19, v10, v19
	v_mul_f32_e32 v10, 0xbf788fa5, v5
	v_fma_f32 v6, v4, s7, -v6
	v_add_f32_e32 v17, v215, v17
	v_mov_b32_e32 v215, v10
	v_add_f32_e32 v18, v6, v18
	v_fmac_f32_e32 v10, 0x3e750f2a, v100
	v_mul_f32_e32 v6, 0x3eedf032, v101
	v_add_f32_e32 v20, v10, v20
	v_mov_b32_e32 v10, v6
	v_fmac_f32_e32 v10, 0x3f62ad3f, v4
	v_add_f32_e32 v145, v220, v145
	v_fmac_f32_e32 v215, 0xbe750f2a, v100
	v_add_f32_e32 v23, v10, v23
	v_mul_f32_e32 v10, 0x3f62ad3f, v5
	v_fma_f32 v6, v4, s4, -v6
	v_add_f32_e32 v145, v218, v145
	v_add_f32_e32 v21, v215, v21
	v_mov_b32_e32 v215, v10
	v_add_f32_e32 v22, v6, v22
	v_fmac_f32_e32 v10, 0x3eedf032, v100
	v_mul_f32_e32 v6, 0xbf6f5d39, v101
	v_add_f32_e32 v146, v222, v146
	v_add_f32_e32 v145, v10, v145
	v_mov_b32_e32 v10, v6
	v_add_f32_e32 v146, v221, v146
	v_fmac_f32_e32 v10, 0xbeb58ec6, v4
	v_mul_f32_e32 v5, 0xbeb58ec6, v5
	v_add_f32_e32 v146, v219, v146
	v_fmac_f32_e32 v215, 0xbeedf032, v100
	v_add_f32_e32 v101, v10, v147
	v_mov_b32_e32 v10, v5
	v_fma_f32 v4, v4, s5, -v6
	v_add_f32_e32 v218, v109, v143
	v_sub_f32_e32 v109, v109, v143
	v_add_f32_e32 v146, v215, v146
	v_fmac_f32_e32 v10, 0x3f6f5d39, v100
	v_add_f32_e32 v215, v4, v2
	v_fmac_f32_e32 v5, 0xbf6f5d39, v100
	v_mul_f32_e32 v2, 0xbe750f2a, v109
	v_add_f32_e32 v147, v10, v216
	v_add_f32_e32 v216, v5, v3
	;; [unrolled: 1-line block ×3, first 2 shown]
	v_mov_b32_e32 v3, v2
	v_fmac_f32_e32 v3, 0xbf788fa5, v100
	v_add_f32_e32 v6, v3, v7
	v_mul_f32_e32 v3, 0xbf788fa5, v218
	v_sub_f32_e32 v108, v108, v142
	v_mov_b32_e32 v4, v3
	v_fmac_f32_e32 v4, 0x3e750f2a, v108
	v_add_f32_e32 v7, v4, v9
	v_mul_f32_e32 v4, 0x3eedf032, v109
	v_mov_b32_e32 v5, v4
	v_fmac_f32_e32 v5, 0x3f62ad3f, v100
	v_fmac_f32_e32 v3, 0xbe750f2a, v108
	v_add_f32_e32 v10, v5, v11
	v_mul_f32_e32 v5, 0x3f62ad3f, v218
	v_add_f32_e32 v3, v3, v8
	v_mov_b32_e32 v8, v5
	v_fmac_f32_e32 v8, 0xbeedf032, v108
	v_add_f32_e32 v11, v8, v13
	v_mul_f32_e32 v8, 0xbf29c268, v109
	v_mov_b32_e32 v9, v8
	v_fma_f32 v8, v100, s6, -v8
	v_fmac_f32_e32 v5, 0x3eedf032, v108
	v_fmac_f32_e32 v9, 0xbf3f9e67, v100
	v_add_f32_e32 v8, v8, v14
	v_mul_f32_e32 v14, 0x3f52af12, v109
	v_add_f32_e32 v5, v5, v12
	v_add_f32_e32 v12, v9, v15
	v_mul_f32_e32 v9, 0xbf3f9e67, v218
	v_mov_b32_e32 v15, v14
	v_fma_f32 v14, v100, s1, -v14
	v_mov_b32_e32 v13, v9
	v_fmac_f32_e32 v9, 0xbf29c268, v108
	v_fmac_f32_e32 v15, 0x3f116cb1, v100
	v_add_f32_e32 v14, v14, v18
	v_mul_f32_e32 v18, 0xbf6f5d39, v109
	v_add_f32_e32 v9, v9, v16
	v_add_f32_e32 v16, v15, v19
	v_mov_b32_e32 v19, v18
	v_fma_f32 v18, v100, s5, -v18
	v_mul_f32_e32 v109, 0x3f7e222b, v109
	v_fmac_f32_e32 v13, 0x3f29c268, v108
	v_mul_f32_e32 v15, 0x3f116cb1, v218
	v_add_f32_e32 v18, v18, v22
	v_mov_b32_e32 v22, v109
	v_add_f32_e32 v13, v13, v17
	v_mov_b32_e32 v17, v15
	v_fmac_f32_e32 v15, 0x3f52af12, v108
	v_fmac_f32_e32 v19, 0xbeb58ec6, v100
	;; [unrolled: 1-line block ×4, first 2 shown]
	v_add_f32_e32 v15, v15, v20
	v_add_f32_e32 v20, v19, v23
	v_mul_f32_e32 v19, 0xbeb58ec6, v218
	v_add_f32_e32 v22, v22, v101
	v_mul_f32_e32 v101, 0x3df6dbef, v218
	v_add_f32_e32 v17, v17, v21
	v_mov_b32_e32 v21, v19
	v_mov_b32_e32 v23, v101
	v_fmac_f32_e32 v21, 0x3f6f5d39, v108
	v_fmac_f32_e32 v19, 0xbf6f5d39, v108
	;; [unrolled: 1-line block ×4, first 2 shown]
	v_add_f32_e32 v108, v102, v138
	v_fma_f32 v2, v100, s7, -v2
	v_fma_f32 v4, v100, s4, -v4
	;; [unrolled: 1-line block ×3, first 2 shown]
	v_add_f32_e32 v109, v103, v139
	v_add_f32_e32 v108, v108, v134
	;; [unrolled: 1-line block ×21, first 2 shown]
	v_sub_f32_e32 v139, v139, v141
	v_add_f32_e32 v4, v4, v217
	v_add_f32_e32 v21, v21, v146
	;; [unrolled: 1-line block ×5, first 2 shown]
	v_sub_f32_e32 v138, v138, v140
	v_mul_f32_e32 v140, 0xbeedf032, v139
	v_mul_f32_e32 v146, 0xbf52af12, v139
	;; [unrolled: 1-line block ×6, first 2 shown]
	v_add_f32_e32 v1, v1, v232
	v_add_f32_e32 v23, v23, v147
	;; [unrolled: 1-line block ×3, first 2 shown]
	v_mov_b32_e32 v141, v140
	v_mov_b32_e32 v147, v146
	;; [unrolled: 1-line block ×6, first 2 shown]
	v_add_f32_e32 v0, v0, v233
	v_add_f32_e32 v2, v2, v144
	;; [unrolled: 1-line block ×3, first 2 shown]
	v_fmac_f32_e32 v141, 0x3f62ad3f, v142
	v_mul_f32_e32 v144, 0x3f62ad3f, v143
	v_fma_f32 v140, v142, s4, -v140
	v_fmac_f32_e32 v147, 0x3f116cb1, v142
	v_mul_f32_e32 v215, 0x3f116cb1, v143
	v_fma_f32 v146, v142, s1, -v146
	;; [unrolled: 3-line block ×6, first 2 shown]
	v_add_f32_e32 v1, v1, v236
	v_add_f32_e32 v19, v19, v145
	;; [unrolled: 1-line block ×4, first 2 shown]
	v_mov_b32_e32 v145, v144
	v_add_f32_e32 v140, v102, v140
	v_add_f32_e32 v147, v102, v147
	v_mov_b32_e32 v216, v215
	v_add_f32_e32 v146, v102, v146
	v_add_f32_e32 v218, v102, v218
	;; [unrolled: 3-line block ×6, first 2 shown]
	v_sub_f32_e32 v135, v135, v137
	v_fmac_f32_e32 v145, 0x3eedf032, v138
	v_fmac_f32_e32 v144, 0xbeedf032, v138
	;; [unrolled: 1-line block ×12, first 2 shown]
	v_add_f32_e32 v138, v134, v136
	v_sub_f32_e32 v134, v134, v136
	v_mul_f32_e32 v136, 0xbf52af12, v135
	v_mov_b32_e32 v137, v136
	v_fmac_f32_e32 v137, 0x3f116cb1, v138
	v_add_f32_e32 v137, v137, v141
	v_mul_f32_e32 v141, 0x3f116cb1, v139
	v_add_f32_e32 v144, v103, v144
	v_mov_b32_e32 v142, v141
	v_fma_f32 v136, v138, s1, -v136
	v_fmac_f32_e32 v141, 0xbf52af12, v134
	v_add_f32_e32 v136, v136, v140
	v_add_f32_e32 v140, v141, v144
	v_mul_f32_e32 v141, 0xbf6f5d39, v135
	v_add_f32_e32 v145, v103, v145
	v_add_f32_e32 v216, v103, v216
	;; [unrolled: 1-line block ×11, first 2 shown]
	v_mov_b32_e32 v143, v141
	v_fma_f32 v141, v138, s5, -v141
	v_fmac_f32_e32 v142, 0x3f52af12, v134
	v_fmac_f32_e32 v143, 0xbeb58ec6, v138
	v_mul_f32_e32 v144, 0xbeb58ec6, v139
	v_add_f32_e32 v141, v141, v146
	v_mul_f32_e32 v146, 0xbe750f2a, v135
	v_add_f32_e32 v142, v142, v145
	v_add_f32_e32 v143, v143, v147
	v_mov_b32_e32 v145, v144
	v_fmac_f32_e32 v144, 0xbf6f5d39, v134
	v_mov_b32_e32 v147, v146
	v_fma_f32 v146, v138, s7, -v146
	v_fmac_f32_e32 v145, 0x3f6f5d39, v134
	v_add_f32_e32 v144, v144, v215
	v_fmac_f32_e32 v147, 0xbf788fa5, v138
	v_mul_f32_e32 v215, 0xbf788fa5, v139
	v_add_f32_e32 v146, v146, v217
	v_mul_f32_e32 v217, 0x3f29c268, v135
	v_add_f32_e32 v145, v145, v216
	v_add_f32_e32 v147, v147, v218
	v_mov_b32_e32 v216, v215
	v_fmac_f32_e32 v215, 0xbe750f2a, v134
	v_mov_b32_e32 v218, v217
	v_fma_f32 v217, v138, s6, -v217
	v_fmac_f32_e32 v216, 0x3e750f2a, v134
	v_add_f32_e32 v215, v215, v219
	v_fmac_f32_e32 v218, 0xbf3f9e67, v138
	v_mul_f32_e32 v219, 0xbf3f9e67, v139
	v_add_f32_e32 v217, v217, v221
	v_mul_f32_e32 v221, 0x3f7e222b, v135
	v_add_f32_e32 v216, v216, v220
	v_add_f32_e32 v218, v218, v222
	v_mov_b32_e32 v220, v219
	v_fmac_f32_e32 v219, 0x3f29c268, v134
	v_mov_b32_e32 v222, v221
	v_fma_f32 v221, v138, s0, -v221
	v_mul_f32_e32 v135, 0x3eedf032, v135
	v_fmac_f32_e32 v220, 0xbf29c268, v134
	v_add_f32_e32 v219, v219, v224
	v_fmac_f32_e32 v222, 0x3df6dbef, v138
	v_mul_f32_e32 v224, 0x3df6dbef, v139
	v_add_f32_e32 v221, v221, v229
	v_mov_b32_e32 v229, v135
	v_mul_f32_e32 v139, 0x3f62ad3f, v139
	v_fma_f32 v135, v138, s4, -v135
	v_add_f32_e32 v220, v220, v228
	v_add_f32_e32 v222, v222, v232
	v_mov_b32_e32 v228, v224
	v_mov_b32_e32 v232, v139
	v_add_f32_e32 v102, v135, v102
	v_add_f32_e32 v135, v131, v133
	v_sub_f32_e32 v131, v131, v133
	v_fmac_f32_e32 v228, 0xbf7e222b, v134
	v_fmac_f32_e32 v224, 0x3f7e222b, v134
	;; [unrolled: 1-line block ×4, first 2 shown]
	v_add_f32_e32 v134, v130, v132
	v_sub_f32_e32 v130, v130, v132
	v_mul_f32_e32 v132, 0xbf7e222b, v131
	v_mov_b32_e32 v133, v132
	v_fmac_f32_e32 v133, 0x3df6dbef, v134
	v_add_f32_e32 v133, v133, v137
	v_mul_f32_e32 v137, 0x3df6dbef, v135
	v_fmac_f32_e32 v229, 0x3f62ad3f, v138
	v_mov_b32_e32 v138, v137
	v_fma_f32 v132, v134, s0, -v132
	v_fmac_f32_e32 v137, 0xbf7e222b, v130
	v_add_f32_e32 v132, v132, v136
	v_add_f32_e32 v136, v137, v140
	v_mul_f32_e32 v137, 0xbe750f2a, v131
	v_add_f32_e32 v103, v139, v103
	v_mov_b32_e32 v139, v137
	v_fma_f32 v137, v134, s7, -v137
	v_fmac_f32_e32 v138, 0x3f7e222b, v130
	v_fmac_f32_e32 v139, 0xbf788fa5, v134
	v_mul_f32_e32 v140, 0xbf788fa5, v135
	v_add_f32_e32 v137, v137, v141
	v_mul_f32_e32 v141, 0x3f6f5d39, v131
	v_add_f32_e32 v138, v138, v142
	v_add_f32_e32 v139, v139, v143
	v_mov_b32_e32 v142, v140
	v_fmac_f32_e32 v140, 0xbe750f2a, v130
	v_mov_b32_e32 v143, v141
	v_fma_f32 v141, v134, s5, -v141
	v_fmac_f32_e32 v142, 0x3e750f2a, v130
	v_add_f32_e32 v140, v140, v144
	v_fmac_f32_e32 v143, 0xbeb58ec6, v134
	v_mul_f32_e32 v144, 0xbeb58ec6, v135
	v_add_f32_e32 v141, v141, v146
	v_mul_f32_e32 v146, 0x3eedf032, v131
	v_add_f32_e32 v142, v142, v145
	v_add_f32_e32 v143, v143, v147
	v_mov_b32_e32 v145, v144
	v_fmac_f32_e32 v144, 0x3f6f5d39, v130
	v_mov_b32_e32 v147, v146
	v_fma_f32 v146, v134, s4, -v146
	v_fmac_f32_e32 v145, 0xbf6f5d39, v130
	v_add_f32_e32 v144, v144, v215
	v_fmac_f32_e32 v147, 0x3f62ad3f, v134
	v_mul_f32_e32 v215, 0x3f62ad3f, v135
	v_add_f32_e32 v146, v146, v217
	v_mul_f32_e32 v217, 0xbf52af12, v131
	v_add_f32_e32 v145, v145, v216
	v_add_f32_e32 v147, v147, v218
	v_mov_b32_e32 v216, v215
	v_fmac_f32_e32 v215, 0x3eedf032, v130
	v_mov_b32_e32 v218, v217
	v_fma_f32 v217, v134, s1, -v217
	v_mul_f32_e32 v131, 0xbf29c268, v131
	v_fmac_f32_e32 v216, 0xbeedf032, v130
	v_add_f32_e32 v215, v215, v219
	v_fmac_f32_e32 v218, 0x3f116cb1, v134
	v_mul_f32_e32 v219, 0x3f116cb1, v135
	v_add_f32_e32 v217, v217, v221
	v_mov_b32_e32 v221, v131
	v_mul_f32_e32 v135, 0xbf3f9e67, v135
	v_fma_f32 v131, v134, s6, -v131
	v_add_f32_e32 v216, v216, v220
	v_add_f32_e32 v218, v218, v222
	v_mov_b32_e32 v220, v219
	v_mov_b32_e32 v222, v135
	v_add_f32_e32 v102, v131, v102
	v_add_f32_e32 v131, v127, v129
	v_sub_f32_e32 v127, v127, v129
	v_fmac_f32_e32 v220, 0x3f52af12, v130
	v_fmac_f32_e32 v219, 0xbf52af12, v130
	;; [unrolled: 1-line block ×4, first 2 shown]
	v_add_f32_e32 v130, v126, v128
	v_sub_f32_e32 v126, v126, v128
	v_mul_f32_e32 v128, 0xbf6f5d39, v127
	v_mov_b32_e32 v129, v128
	v_fmac_f32_e32 v129, 0xbeb58ec6, v130
	v_add_f32_e32 v129, v129, v133
	v_mul_f32_e32 v133, 0xbeb58ec6, v131
	v_fmac_f32_e32 v221, 0xbf3f9e67, v134
	v_mov_b32_e32 v134, v133
	v_fma_f32 v128, v130, s5, -v128
	v_fmac_f32_e32 v133, 0xbf6f5d39, v126
	v_add_f32_e32 v128, v128, v132
	v_add_f32_e32 v132, v133, v136
	v_mul_f32_e32 v133, 0x3f29c268, v127
	v_add_f32_e32 v103, v135, v103
	v_mov_b32_e32 v135, v133
	v_fma_f32 v133, v130, s6, -v133
	v_fmac_f32_e32 v134, 0x3f6f5d39, v126
	v_fmac_f32_e32 v135, 0xbf3f9e67, v130
	v_mul_f32_e32 v136, 0xbf3f9e67, v131
	v_add_f32_e32 v133, v133, v137
	v_mul_f32_e32 v137, 0x3eedf032, v127
	v_add_f32_e32 v134, v134, v138
	v_add_f32_e32 v135, v135, v139
	v_mov_b32_e32 v138, v136
	v_fmac_f32_e32 v136, 0x3f29c268, v126
	v_mov_b32_e32 v139, v137
	v_fma_f32 v137, v130, s4, -v137
	v_fmac_f32_e32 v138, 0xbf29c268, v126
	v_add_f32_e32 v136, v136, v140
	v_fmac_f32_e32 v139, 0x3f62ad3f, v130
	v_mul_f32_e32 v140, 0x3f62ad3f, v131
	v_add_f32_e32 v137, v137, v141
	v_mul_f32_e32 v141, 0xbf7e222b, v127
	v_add_f32_e32 v138, v138, v142
	v_add_f32_e32 v139, v139, v143
	v_mov_b32_e32 v142, v140
	v_fmac_f32_e32 v140, 0x3eedf032, v126
	v_mov_b32_e32 v143, v141
	v_fma_f32 v141, v130, s0, -v141
	v_fmac_f32_e32 v142, 0xbeedf032, v126
	v_add_f32_e32 v140, v140, v144
	v_fmac_f32_e32 v143, 0x3df6dbef, v130
	v_mul_f32_e32 v144, 0x3df6dbef, v131
	v_add_f32_e32 v141, v141, v146
	v_mul_f32_e32 v146, 0x3e750f2a, v127
	v_add_f32_e32 v142, v142, v145
	v_add_f32_e32 v143, v143, v147
	v_mov_b32_e32 v145, v144
	v_fmac_f32_e32 v144, 0xbf7e222b, v126
	v_mov_b32_e32 v147, v146
	v_fma_f32 v146, v130, s7, -v146
	v_mul_f32_e32 v127, 0x3f52af12, v127
	v_fmac_f32_e32 v145, 0x3f7e222b, v126
	v_add_f32_e32 v144, v144, v215
	v_fmac_f32_e32 v147, 0xbf788fa5, v130
	v_mul_f32_e32 v215, 0xbf788fa5, v131
	v_add_f32_e32 v146, v146, v217
	v_mov_b32_e32 v217, v127
	v_mul_f32_e32 v131, 0x3f116cb1, v131
	v_fma_f32 v127, v130, s1, -v127
	v_add_f32_e32 v145, v145, v216
	v_add_f32_e32 v147, v147, v218
	v_mov_b32_e32 v216, v215
	v_mov_b32_e32 v218, v131
	v_add_f32_e32 v102, v127, v102
	v_add_f32_e32 v127, v123, v125
	v_sub_f32_e32 v123, v123, v125
	v_fmac_f32_e32 v216, 0xbe750f2a, v126
	v_fmac_f32_e32 v215, 0x3e750f2a, v126
	;; [unrolled: 1-line block ×4, first 2 shown]
	v_add_f32_e32 v126, v122, v124
	v_sub_f32_e32 v122, v122, v124
	v_mul_f32_e32 v124, 0xbf29c268, v123
	v_mov_b32_e32 v125, v124
	v_fmac_f32_e32 v125, 0xbf3f9e67, v126
	v_add_f32_e32 v125, v125, v129
	v_mul_f32_e32 v129, 0xbf3f9e67, v127
	v_fmac_f32_e32 v217, 0x3f116cb1, v130
	v_mov_b32_e32 v130, v129
	v_fma_f32 v124, v126, s6, -v124
	v_fmac_f32_e32 v129, 0xbf29c268, v122
	v_add_f32_e32 v124, v124, v128
	v_add_f32_e32 v128, v129, v132
	v_mul_f32_e32 v129, 0x3f7e222b, v123
	v_add_f32_e32 v103, v131, v103
	v_mov_b32_e32 v131, v129
	v_fma_f32 v129, v126, s0, -v129
	v_fmac_f32_e32 v130, 0x3f29c268, v122
	v_fmac_f32_e32 v131, 0x3df6dbef, v126
	v_mul_f32_e32 v132, 0x3df6dbef, v127
	v_add_f32_e32 v129, v129, v133
	v_mul_f32_e32 v133, 0xbf52af12, v123
	v_add_f32_e32 v130, v130, v134
	v_add_f32_e32 v131, v131, v135
	v_mov_b32_e32 v134, v132
	v_fmac_f32_e32 v132, 0x3f7e222b, v122
	v_mov_b32_e32 v135, v133
	v_fma_f32 v133, v126, s1, -v133
	v_fmac_f32_e32 v134, 0xbf7e222b, v122
	v_add_f32_e32 v132, v132, v136
	v_fmac_f32_e32 v135, 0x3f116cb1, v126
	v_mul_f32_e32 v136, 0x3f116cb1, v127
	v_add_f32_e32 v133, v133, v137
	v_mul_f32_e32 v137, 0x3e750f2a, v123
	v_add_f32_e32 v134, v134, v138
	v_add_f32_e32 v135, v135, v139
	v_mov_b32_e32 v138, v136
	v_fmac_f32_e32 v136, 0xbf52af12, v122
	v_mov_b32_e32 v139, v137
	v_fma_f32 v137, v126, s7, -v137
	v_fmac_f32_e32 v138, 0x3f52af12, v122
	v_add_f32_e32 v136, v136, v140
	v_fmac_f32_e32 v139, 0xbf788fa5, v126
	v_mul_f32_e32 v140, 0xbf788fa5, v127
	v_add_f32_e32 v137, v137, v141
	v_mul_f32_e32 v141, 0x3eedf032, v123
	v_add_f32_e32 v138, v138, v142
	v_add_f32_e32 v139, v139, v143
	v_mov_b32_e32 v142, v140
	v_fmac_f32_e32 v140, 0x3e750f2a, v122
	v_mov_b32_e32 v143, v141
	v_add_f32_e32 v232, v232, v236
	v_add_f32_e32 v140, v140, v144
	v_fmac_f32_e32 v143, 0x3f62ad3f, v126
	v_mul_f32_e32 v144, 0x3f62ad3f, v127
	v_mul_f32_e32 v127, 0xbeb58ec6, v127
	v_add_f32_e32 v222, v222, v232
	v_add_f32_e32 v143, v143, v147
	v_mov_b32_e32 v147, v127
	v_add_f32_e32 v228, v228, v234
	v_add_f32_e32 v229, v229, v235
	;; [unrolled: 1-line block ×3, first 2 shown]
	v_fmac_f32_e32 v142, 0xbe750f2a, v122
	v_fma_f32 v141, v126, s4, -v141
	v_mul_f32_e32 v123, 0xbf6f5d39, v123
	v_fmac_f32_e32 v147, 0x3f6f5d39, v122
	v_add_f32_e32 v224, v224, v233
	v_add_f32_e32 v220, v220, v228
	;; [unrolled: 1-line block ×4, first 2 shown]
	v_mov_b32_e32 v145, v144
	v_add_f32_e32 v141, v141, v146
	v_mov_b32_e32 v146, v123
	v_add_f32_e32 v147, v147, v218
	v_add_f32_e32 v218, v119, v121
	;; [unrolled: 1-line block ×5, first 2 shown]
	v_fmac_f32_e32 v145, 0xbeedf032, v122
	v_fmac_f32_e32 v146, 0xbeb58ec6, v126
	;; [unrolled: 1-line block ×3, first 2 shown]
	v_sub_f32_e32 v220, v119, v121
	v_mul_f32_e32 v119, 0xbf788fa5, v218
	v_add_f32_e32 v215, v215, v219
	v_add_f32_e32 v145, v145, v216
	v_fmac_f32_e32 v144, 0x3eedf032, v122
	v_add_f32_e32 v146, v146, v217
	v_fma_f32 v123, v126, s5, -v123
	v_add_f32_e32 v216, v127, v103
	v_add_f32_e32 v217, v118, v120
	v_sub_f32_e32 v219, v118, v120
	v_mul_f32_e32 v118, 0xbe750f2a, v220
	v_mov_b32_e32 v103, v119
	v_add_f32_e32 v144, v144, v215
	v_add_f32_e32 v215, v123, v102
	v_mov_b32_e32 v102, v118
	v_fmac_f32_e32 v103, 0x3e750f2a, v219
	v_fmac_f32_e32 v102, 0xbf788fa5, v217
	v_add_f32_e32 v103, v103, v130
	v_fma_f32 v118, v217, s7, -v118
	v_fmac_f32_e32 v119, 0xbe750f2a, v219
	v_mul_f32_e32 v122, 0x3eedf032, v220
	v_mul_f32_e32 v123, 0x3f62ad3f, v218
	;; [unrolled: 1-line block ×5, first 2 shown]
	v_add_f32_e32 v102, v102, v125
	v_add_f32_e32 v118, v118, v124
	;; [unrolled: 1-line block ×3, first 2 shown]
	v_mov_b32_e32 v120, v122
	v_mov_b32_e32 v121, v123
	;; [unrolled: 1-line block ×5, first 2 shown]
	v_fmac_f32_e32 v120, 0x3f62ad3f, v217
	v_fmac_f32_e32 v121, 0xbeedf032, v219
	;; [unrolled: 1-line block ×5, first 2 shown]
	v_add_f32_e32 v120, v120, v131
	v_add_f32_e32 v121, v121, v134
	v_fma_f32 v122, v217, s4, -v122
	v_fmac_f32_e32 v123, 0x3eedf032, v219
	v_add_f32_e32 v124, v124, v135
	v_add_f32_e32 v125, v125, v138
	v_fma_f32 v126, v217, s6, -v126
	v_fmac_f32_e32 v127, 0xbf29c268, v219
	v_add_f32_e32 v128, v128, v139
	v_mul_f32_e32 v131, 0x3f116cb1, v218
	v_fma_f32 v130, v217, s1, -v130
	v_mul_f32_e32 v134, 0xbf6f5d39, v220
	v_mul_f32_e32 v135, 0xbeb58ec6, v218
	v_mul_f32_e32 v138, 0x3f7e222b, v220
	v_mul_f32_e32 v139, 0x3df6dbef, v218
	v_add_f32_e32 v122, v122, v129
	v_add_f32_e32 v123, v123, v132
	;; [unrolled: 1-line block ×4, first 2 shown]
	v_mov_b32_e32 v129, v131
	v_add_f32_e32 v130, v130, v137
	v_mov_b32_e32 v132, v134
	v_mov_b32_e32 v133, v135
	;; [unrolled: 1-line block ×4, first 2 shown]
	v_fmac_f32_e32 v129, 0xbf52af12, v219
	v_fmac_f32_e32 v131, 0x3f52af12, v219
	;; [unrolled: 1-line block ×4, first 2 shown]
	v_fma_f32 v134, v217, s5, -v134
	v_fmac_f32_e32 v135, 0xbf6f5d39, v219
	v_fmac_f32_e32 v136, 0x3df6dbef, v217
	;; [unrolled: 1-line block ×3, first 2 shown]
	v_fma_f32 v138, v217, s0, -v138
	v_fmac_f32_e32 v139, 0x3f7e222b, v219
	v_add_f32_e32 v0, v0, v237
	v_add_f32_e32 v1, v1, v240
	;; [unrolled: 1-line block ×12, first 2 shown]
	s_waitcnt lgkmcnt(0)
	; wave barrier
	ds_write2_b64 v226, v[0:1], v[6:7] offset1:2
	ds_write2_b64 v226, v[10:11], v[12:13] offset0:4 offset1:6
	ds_write2_b64 v226, v[16:17], v[20:21] offset0:8 offset1:10
	;; [unrolled: 1-line block ×5, first 2 shown]
	ds_write_b64 v226, v[2:3] offset:192
	ds_write2_b64 v227, v[108:109], v[102:103] offset1:2
	ds_write2_b64 v227, v[120:121], v[124:125] offset0:4 offset1:6
	ds_write2_b64 v227, v[128:129], v[132:133] offset0:8 offset1:10
	;; [unrolled: 1-line block ×5, first 2 shown]
	ds_write_b64 v227, v[118:119] offset:192
	s_waitcnt lgkmcnt(0)
	; wave barrier
	s_waitcnt lgkmcnt(0)
	ds_read2_b64 v[0:3], v223 offset1:52
	ds_read2_b64 v[8:11], v223 offset0:104 offset1:156
	ds_read2_b64 v[12:15], v113 offset0:80 offset1:132
	;; [unrolled: 1-line block ×12, first 2 shown]
	s_waitcnt lgkmcnt(11)
	v_mul_f32_e32 v4, v45, v8
	v_fma_f32 v109, v44, v9, -v4
	s_waitcnt lgkmcnt(10)
	v_mul_f32_e32 v116, v47, v13
	v_mul_f32_e32 v4, v47, v12
	v_fmac_f32_e32 v116, v46, v12
	v_fma_f32 v12, v46, v13, -v4
	s_waitcnt lgkmcnt(9)
	v_mul_f32_e32 v13, v33, v17
	v_mul_f32_e32 v4, v33, v16
	v_fmac_f32_e32 v13, v32, v16
	v_fma_f32 v16, v32, v17, -v4
	s_waitcnt lgkmcnt(8)
	v_mul_f32_e32 v17, v35, v21
	v_mul_f32_e32 v4, v35, v20
	v_fmac_f32_e32 v17, v34, v20
	v_fma_f32 v20, v34, v21, -v4
	s_waitcnt lgkmcnt(7)
	v_mul_f32_e32 v21, v29, v101
	v_mul_f32_e32 v4, v29, v100
	v_fmac_f32_e32 v21, v28, v100
	v_fma_f32 v28, v28, v101, -v4
	s_waitcnt lgkmcnt(6)
	v_mul_f32_e32 v4, v31, v118
	v_fma_f32 v7, v30, v119, -v4
	s_waitcnt lgkmcnt(5)
	v_mul_f32_e32 v4, v25, v122
	v_mul_f32_e32 v108, v45, v9
	v_fma_f32 v9, v24, v123, -v4
	s_waitcnt lgkmcnt(4)
	v_mul_f32_e32 v4, v27, v126
	v_fmac_f32_e32 v108, v44, v8
	v_mul_f32_e32 v8, v25, v123
	v_fma_f32 v25, v26, v127, -v4
	s_waitcnt lgkmcnt(3)
	v_mul_f32_e32 v4, v53, v130
	v_fmac_f32_e32 v8, v24, v122
	v_mul_f32_e32 v24, v27, v127
	v_fma_f32 v27, v52, v131, -v4
	s_waitcnt lgkmcnt(2)
	v_mul_f32_e32 v4, v55, v134
	v_fma_f32 v100, v54, v135, -v4
	s_waitcnt lgkmcnt(1)
	;; [unrolled: 3-line block ×3, first 2 shown]
	v_mul_f32_e32 v4, v43, v142
	v_mul_f32_e32 v6, v31, v119
	v_fma_f32 v119, v42, v143, -v4
	v_mul_f32_e32 v4, v65, v10
	v_mul_f32_e32 v29, v55, v135
	v_fma_f32 v55, v64, v11, -v4
	v_mul_f32_e32 v4, v67, v14
	v_fma_f32 v47, v66, v15, -v4
	v_mul_f32_e32 v4, v61, v18
	v_fmac_f32_e32 v6, v30, v118
	v_mul_f32_e32 v118, v43, v143
	v_fma_f32 v43, v60, v19, -v4
	v_mul_f32_e32 v4, v63, v22
	v_mul_f32_e32 v101, v41, v139
	v_fma_f32 v41, v62, v23, -v4
	v_mul_f32_e32 v4, v57, v102
	v_fma_f32 v35, v56, v103, -v4
	v_mul_f32_e32 v4, v59, v120
	v_fma_f32 v31, v58, v121, -v4
	v_mul_f32_e32 v4, v37, v124
	v_fma_f32 v33, v36, v125, -v4
	v_mul_f32_e32 v4, v39, v128
	v_mul_f32_e32 v32, v37, v125
	v_fma_f32 v37, v38, v129, -v4
	v_mul_f32_e32 v4, v73, v132
	v_fmac_f32_e32 v32, v36, v124
	v_mul_f32_e32 v36, v39, v129
	v_fma_f32 v39, v72, v133, -v4
	v_mul_f32_e32 v4, v75, v136
	v_fma_f32 v45, v74, v137, -v4
	v_mul_f32_e32 v4, v69, v140
	v_fmac_f32_e32 v24, v26, v126
	v_mul_f32_e32 v26, v53, v131
	v_fma_f32 v53, v68, v141, -v4
	v_mul_f32_e32 v4, v71, v144
	v_mul_f32_e32 v34, v57, v103
	v_fma_f32 v57, v70, v145, -v4
	v_add_f32_e32 v4, v0, v108
	v_add_f32_e32 v4, v4, v116
	;; [unrolled: 1-line block ×4, first 2 shown]
	v_fmac_f32_e32 v26, v52, v130
	v_fmac_f32_e32 v29, v54, v134
	;; [unrolled: 1-line block ×4, first 2 shown]
	v_mul_f32_e32 v54, v65, v11
	v_mul_f32_e32 v42, v61, v19
	;; [unrolled: 1-line block ×3, first 2 shown]
	v_fmac_f32_e32 v36, v38, v128
	v_mul_f32_e32 v38, v73, v133
	v_mul_f32_e32 v52, v69, v141
	v_add_f32_e32 v4, v4, v21
	v_add_f32_e32 v11, v109, v119
	v_fmac_f32_e32 v54, v64, v10
	v_mul_f32_e32 v46, v67, v15
	v_fmac_f32_e32 v42, v60, v18
	v_fmac_f32_e32 v40, v62, v22
	v_fmac_f32_e32 v38, v72, v132
	v_fmac_f32_e32 v52, v68, v140
	v_add_f32_e32 v4, v4, v6
	v_mul_f32_e32 v22, 0x3f62ad3f, v11
	v_mul_f32_e32 v60, 0x3f116cb1, v11
	;; [unrolled: 1-line block ×6, first 2 shown]
	v_fmac_f32_e32 v46, v66, v14
	v_fmac_f32_e32 v34, v56, v102
	v_mul_f32_e32 v30, v59, v121
	v_mul_f32_e32 v44, v75, v137
	;; [unrolled: 1-line block ×3, first 2 shown]
	v_add_f32_e32 v4, v4, v8
	v_sub_f32_e32 v14, v108, v118
	v_sub_f32_e32 v15, v109, v119
	v_mov_b32_e32 v23, v22
	v_mov_b32_e32 v61, v60
	;; [unrolled: 1-line block ×6, first 2 shown]
	v_fmac_f32_e32 v30, v58, v120
	v_fmac_f32_e32 v56, v70, v144
	v_add_f32_e32 v5, v1, v109
	v_add_f32_e32 v4, v4, v24
	v_mul_f32_e32 v18, 0xbeedf032, v15
	v_fmac_f32_e32 v23, 0x3eedf032, v14
	v_fmac_f32_e32 v22, 0xbeedf032, v14
	v_mul_f32_e32 v58, 0xbf52af12, v15
	v_fmac_f32_e32 v61, 0x3f52af12, v14
	v_fmac_f32_e32 v60, 0xbf52af12, v14
	;; [unrolled: 3-line block ×6, first 2 shown]
	v_fmac_f32_e32 v44, v74, v136
	v_add_f32_e32 v5, v5, v12
	v_add_f32_e32 v4, v4, v26
	;; [unrolled: 1-line block ×3, first 2 shown]
	v_mov_b32_e32 v19, v18
	v_add_f32_e32 v23, v1, v23
	v_add_f32_e32 v22, v1, v22
	v_mov_b32_e32 v59, v58
	v_add_f32_e32 v61, v1, v61
	v_add_f32_e32 v60, v1, v60
	;; [unrolled: 3-line block ×6, first 2 shown]
	v_add_f32_e32 v11, v12, v117
	v_sub_f32_e32 v12, v12, v117
	v_add_f32_e32 v4, v4, v29
	v_fmac_f32_e32 v19, 0x3f62ad3f, v10
	v_fma_f32 v18, v10, s4, -v18
	v_fmac_f32_e32 v59, 0x3f116cb1, v10
	v_fma_f32 v58, v10, s1, -v58
	;; [unrolled: 2-line block ×6, first 2 shown]
	v_mul_f32_e32 v15, 0xbf52af12, v12
	v_add_f32_e32 v4, v4, v101
	v_add_f32_e32 v19, v0, v19
	;; [unrolled: 1-line block ×14, first 2 shown]
	v_sub_f32_e32 v14, v116, v101
	v_mov_b32_e32 v101, v15
	v_fmac_f32_e32 v101, 0x3f116cb1, v10
	v_add_f32_e32 v19, v101, v19
	v_mul_f32_e32 v101, 0x3f116cb1, v11
	v_mov_b32_e32 v102, v101
	v_fma_f32 v15, v10, s1, -v15
	v_fmac_f32_e32 v101, 0xbf52af12, v14
	v_add_f32_e32 v15, v15, v18
	v_add_f32_e32 v18, v101, v22
	v_mul_f32_e32 v22, 0xbf6f5d39, v12
	v_mov_b32_e32 v101, v22
	v_fmac_f32_e32 v101, 0xbeb58ec6, v10
	v_fmac_f32_e32 v102, 0x3f52af12, v14
	v_add_f32_e32 v59, v101, v59
	v_mul_f32_e32 v101, 0xbeb58ec6, v11
	v_add_f32_e32 v23, v102, v23
	v_mov_b32_e32 v102, v101
	v_fma_f32 v22, v10, s5, -v22
	v_fmac_f32_e32 v101, 0xbf6f5d39, v14
	v_add_f32_e32 v22, v22, v58
	v_add_f32_e32 v58, v101, v60
	v_mul_f32_e32 v60, 0xbe750f2a, v12
	v_mov_b32_e32 v101, v60
	v_fmac_f32_e32 v101, 0xbf788fa5, v10
	v_fmac_f32_e32 v102, 0x3f6f5d39, v14
	v_add_f32_e32 v63, v101, v63
	v_mul_f32_e32 v101, 0xbf788fa5, v11
	v_add_f32_e32 v61, v102, v61
	;; [unrolled: 12-line block ×4, first 2 shown]
	v_mov_b32_e32 v102, v101
	v_fma_f32 v68, v10, s0, -v68
	v_fmac_f32_e32 v101, 0x3f7e222b, v14
	v_mul_f32_e32 v12, 0x3eedf032, v12
	v_add_f32_e32 v68, v68, v70
	v_add_f32_e32 v70, v101, v72
	v_mov_b32_e32 v72, v12
	v_fmac_f32_e32 v72, 0x3f62ad3f, v10
	v_mul_f32_e32 v11, 0x3f62ad3f, v11
	v_fma_f32 v10, v10, s4, -v12
	v_add_f32_e32 v72, v72, v74
	v_mov_b32_e32 v74, v11
	v_add_f32_e32 v0, v10, v0
	v_add_f32_e32 v10, v13, v29
	v_sub_f32_e32 v12, v13, v29
	v_sub_f32_e32 v13, v16, v100
	v_fmac_f32_e32 v102, 0xbf7e222b, v14
	v_fmac_f32_e32 v74, 0xbeedf032, v14
	v_fmac_f32_e32 v11, 0x3eedf032, v14
	v_mul_f32_e32 v14, 0xbf7e222b, v13
	v_add_f32_e32 v5, v5, v16
	v_add_f32_e32 v1, v11, v1
	;; [unrolled: 1-line block ×3, first 2 shown]
	v_mov_b32_e32 v16, v14
	v_fmac_f32_e32 v16, 0x3df6dbef, v10
	v_add_f32_e32 v16, v16, v19
	v_mul_f32_e32 v19, 0x3df6dbef, v11
	v_mov_b32_e32 v29, v19
	v_fma_f32 v14, v10, s0, -v14
	v_fmac_f32_e32 v19, 0xbf7e222b, v12
	v_add_f32_e32 v14, v14, v15
	v_add_f32_e32 v15, v19, v18
	v_mul_f32_e32 v18, 0xbe750f2a, v13
	v_fmac_f32_e32 v29, 0x3f7e222b, v12
	v_mov_b32_e32 v19, v18
	v_add_f32_e32 v23, v29, v23
	v_fmac_f32_e32 v19, 0xbf788fa5, v10
	v_mul_f32_e32 v29, 0xbf788fa5, v11
	v_add_f32_e32 v19, v19, v59
	v_mov_b32_e32 v59, v29
	v_fma_f32 v18, v10, s7, -v18
	v_fmac_f32_e32 v29, 0xbe750f2a, v12
	v_add_f32_e32 v18, v18, v22
	v_add_f32_e32 v22, v29, v58
	v_mul_f32_e32 v29, 0x3f6f5d39, v13
	v_fmac_f32_e32 v59, 0x3e750f2a, v12
	v_mov_b32_e32 v58, v29
	v_add_f32_e32 v59, v59, v61
	v_fmac_f32_e32 v58, 0xbeb58ec6, v10
	v_mul_f32_e32 v61, 0xbeb58ec6, v11
	v_add_f32_e32 v58, v58, v63
	;; [unrolled: 12-line block ×4, first 2 shown]
	v_mov_b32_e32 v71, v69
	v_fma_f32 v65, v10, s1, -v65
	v_fmac_f32_e32 v69, 0xbf52af12, v12
	v_mul_f32_e32 v13, 0xbf29c268, v13
	v_add_f32_e32 v65, v65, v68
	v_add_f32_e32 v68, v69, v70
	v_mov_b32_e32 v69, v13
	v_mul_f32_e32 v11, 0xbf3f9e67, v11
	v_fmac_f32_e32 v69, 0xbf3f9e67, v10
	v_mov_b32_e32 v70, v11
	v_fma_f32 v10, v10, s6, -v13
	v_sub_f32_e32 v13, v20, v27
	v_fmac_f32_e32 v71, 0x3f52af12, v12
	v_fmac_f32_e32 v70, 0x3f29c268, v12
	v_add_f32_e32 v0, v10, v0
	v_fmac_f32_e32 v11, 0xbf29c268, v12
	v_add_f32_e32 v10, v17, v26
	v_sub_f32_e32 v12, v17, v26
	v_mul_f32_e32 v17, 0xbf6f5d39, v13
	v_add_f32_e32 v5, v5, v20
	v_add_f32_e32 v1, v11, v1
	;; [unrolled: 1-line block ×3, first 2 shown]
	v_mov_b32_e32 v20, v17
	v_fmac_f32_e32 v20, 0xbeb58ec6, v10
	v_add_f32_e32 v16, v20, v16
	v_mul_f32_e32 v20, 0xbeb58ec6, v11
	v_fma_f32 v17, v10, s5, -v17
	v_mov_b32_e32 v26, v20
	v_add_f32_e32 v14, v17, v14
	v_fmac_f32_e32 v20, 0xbf6f5d39, v12
	v_mul_f32_e32 v17, 0x3f29c268, v13
	v_add_f32_e32 v15, v20, v15
	v_mov_b32_e32 v20, v17
	v_fmac_f32_e32 v20, 0xbf3f9e67, v10
	v_add_f32_e32 v5, v5, v28
	v_fmac_f32_e32 v26, 0x3f6f5d39, v12
	v_add_f32_e32 v19, v20, v19
	v_mul_f32_e32 v20, 0xbf3f9e67, v11
	v_add_f32_e32 v5, v5, v7
	v_add_f32_e32 v23, v26, v23
	v_mov_b32_e32 v26, v20
	v_fma_f32 v17, v10, s6, -v17
	v_fmac_f32_e32 v20, 0x3f29c268, v12
	v_add_f32_e32 v5, v5, v9
	v_add_f32_e32 v17, v17, v18
	;; [unrolled: 1-line block ×3, first 2 shown]
	v_mul_f32_e32 v20, 0x3eedf032, v13
	v_add_f32_e32 v5, v5, v25
	v_mov_b32_e32 v22, v20
	v_fma_f32 v20, v10, s4, -v20
	v_add_f32_e32 v5, v5, v27
	v_fmac_f32_e32 v26, 0xbf29c268, v12
	v_fmac_f32_e32 v22, 0x3f62ad3f, v10
	v_mul_f32_e32 v27, 0x3f62ad3f, v11
	v_add_f32_e32 v20, v20, v29
	v_mul_f32_e32 v29, 0xbf7e222b, v13
	v_add_f32_e32 v26, v26, v59
	v_add_f32_e32 v22, v22, v58
	v_mov_b32_e32 v58, v27
	v_fmac_f32_e32 v27, 0x3eedf032, v12
	v_mov_b32_e32 v59, v29
	v_fma_f32 v29, v10, s0, -v29
	v_fmac_f32_e32 v58, 0xbeedf032, v12
	v_add_f32_e32 v27, v27, v60
	v_fmac_f32_e32 v59, 0x3df6dbef, v10
	v_mul_f32_e32 v60, 0x3df6dbef, v11
	v_add_f32_e32 v29, v29, v61
	v_mul_f32_e32 v61, 0x3e750f2a, v13
	v_add_f32_e32 v58, v58, v63
	v_add_f32_e32 v59, v59, v62
	v_mov_b32_e32 v62, v60
	v_fmac_f32_e32 v60, 0xbf7e222b, v12
	v_mov_b32_e32 v63, v61
	v_fma_f32 v61, v10, s7, -v61
	v_mul_f32_e32 v13, 0x3f52af12, v13
	v_fmac_f32_e32 v62, 0x3f7e222b, v12
	v_add_f32_e32 v60, v60, v64
	v_fmac_f32_e32 v63, 0xbf788fa5, v10
	v_mul_f32_e32 v64, 0xbf788fa5, v11
	v_add_f32_e32 v61, v61, v65
	v_mov_b32_e32 v65, v13
	v_mul_f32_e32 v11, 0x3f116cb1, v11
	v_add_f32_e32 v62, v62, v67
	v_add_f32_e32 v63, v63, v66
	v_mov_b32_e32 v66, v64
	v_fmac_f32_e32 v65, 0x3f116cb1, v10
	v_mov_b32_e32 v67, v11
	v_fma_f32 v10, v10, s1, -v13
	v_sub_f32_e32 v13, v28, v25
	v_fmac_f32_e32 v66, 0xbe750f2a, v12
	v_fmac_f32_e32 v64, 0x3e750f2a, v12
	;; [unrolled: 1-line block ×3, first 2 shown]
	v_add_f32_e32 v0, v10, v0
	v_fmac_f32_e32 v11, 0x3f52af12, v12
	v_add_f32_e32 v10, v21, v24
	v_sub_f32_e32 v12, v21, v24
	v_mul_f32_e32 v21, 0xbf29c268, v13
	v_mov_b32_e32 v24, v21
	v_add_f32_e32 v1, v11, v1
	v_add_f32_e32 v11, v28, v25
	v_fmac_f32_e32 v24, 0xbf3f9e67, v10
	v_add_f32_e32 v16, v24, v16
	v_mul_f32_e32 v24, 0xbf3f9e67, v11
	v_fma_f32 v21, v10, s6, -v21
	v_mov_b32_e32 v25, v24
	v_add_f32_e32 v14, v21, v14
	v_fmac_f32_e32 v24, 0xbf29c268, v12
	v_mul_f32_e32 v21, 0x3f7e222b, v13
	v_add_f32_e32 v15, v24, v15
	v_mov_b32_e32 v24, v21
	v_fmac_f32_e32 v24, 0x3df6dbef, v10
	v_fmac_f32_e32 v25, 0x3f29c268, v12
	v_add_f32_e32 v19, v24, v19
	v_mul_f32_e32 v24, 0x3df6dbef, v11
	v_fma_f32 v21, v10, s0, -v21
	v_add_f32_e32 v23, v25, v23
	v_mov_b32_e32 v25, v24
	v_add_f32_e32 v17, v21, v17
	v_fmac_f32_e32 v24, 0x3f7e222b, v12
	v_mul_f32_e32 v21, 0xbf52af12, v13
	v_add_f32_e32 v18, v24, v18
	v_mov_b32_e32 v24, v21
	v_fmac_f32_e32 v24, 0x3f116cb1, v10
	v_fmac_f32_e32 v25, 0xbf7e222b, v12
	v_add_f32_e32 v22, v24, v22
	v_mul_f32_e32 v24, 0x3f116cb1, v11
	v_add_f32_e32 v25, v25, v26
	v_mov_b32_e32 v26, v24
	v_fma_f32 v21, v10, s1, -v21
	v_fmac_f32_e32 v24, 0xbf52af12, v12
	v_add_f32_e32 v20, v21, v20
	v_add_f32_e32 v21, v24, v27
	v_mul_f32_e32 v24, 0x3e750f2a, v13
	v_mov_b32_e32 v27, v24
	v_fma_f32 v24, v10, s7, -v24
	v_fmac_f32_e32 v26, 0x3f52af12, v12
	v_fmac_f32_e32 v27, 0xbf788fa5, v10
	v_mul_f32_e32 v28, 0xbf788fa5, v11
	v_add_f32_e32 v24, v24, v29
	v_mul_f32_e32 v29, 0x3eedf032, v13
	v_add_f32_e32 v26, v26, v58
	v_add_f32_e32 v27, v27, v59
	v_mov_b32_e32 v58, v28
	v_fmac_f32_e32 v28, 0x3e750f2a, v12
	v_mov_b32_e32 v59, v29
	v_fma_f32 v29, v10, s4, -v29
	v_mul_f32_e32 v13, 0xbf6f5d39, v13
	v_add_f32_e32 v73, v102, v73
	v_add_f32_e32 v69, v69, v72
	v_fmac_f32_e32 v58, 0xbe750f2a, v12
	v_add_f32_e32 v28, v28, v60
	v_mul_f32_e32 v60, 0x3f62ad3f, v11
	v_add_f32_e32 v29, v29, v61
	v_mov_b32_e32 v61, v13
	v_add_f32_e32 v74, v74, v75
	v_add_f32_e32 v71, v71, v73
	v_add_f32_e32 v64, v64, v68
	v_add_f32_e32 v65, v65, v69
	v_add_f32_e32 v58, v58, v62
	v_fmac_f32_e32 v59, 0x3f62ad3f, v10
	v_mov_b32_e32 v62, v60
	v_fmac_f32_e32 v60, 0x3eedf032, v12
	v_fmac_f32_e32 v61, 0xbeb58ec6, v10
	v_mul_f32_e32 v11, 0xbeb58ec6, v11
	v_fma_f32 v10, v10, s5, -v13
	v_sub_f32_e32 v69, v7, v9
	v_add_f32_e32 v70, v70, v74
	v_add_f32_e32 v66, v66, v71
	;; [unrolled: 1-line block ×3, first 2 shown]
	v_fmac_f32_e32 v62, 0xbeedf032, v12
	v_add_f32_e32 v60, v60, v64
	v_mov_b32_e32 v63, v11
	v_add_f32_e32 v64, v10, v0
	v_fmac_f32_e32 v11, 0xbf6f5d39, v12
	v_mul_f32_e32 v0, 0xbe750f2a, v69
	v_add_f32_e32 v67, v67, v70
	v_add_f32_e32 v62, v62, v66
	;; [unrolled: 1-line block ×3, first 2 shown]
	v_fmac_f32_e32 v63, 0x3f6f5d39, v12
	v_add_f32_e32 v65, v11, v1
	v_add_f32_e32 v66, v6, v8
	v_mov_b32_e32 v1, v0
	v_add_f32_e32 v63, v63, v67
	v_add_f32_e32 v67, v7, v9
	v_fmac_f32_e32 v1, 0xbf788fa5, v66
	v_sub_f32_e32 v68, v6, v8
	v_add_f32_e32 v8, v1, v16
	v_mul_f32_e32 v1, 0xbf788fa5, v67
	v_mov_b32_e32 v6, v1
	v_fmac_f32_e32 v6, 0x3e750f2a, v68
	v_add_f32_e32 v9, v6, v23
	v_mul_f32_e32 v6, 0x3eedf032, v69
	v_mov_b32_e32 v7, v6
	v_fmac_f32_e32 v7, 0x3f62ad3f, v66
	;; [unrolled: 4-line block ×3, first 2 shown]
	v_add_f32_e32 v13, v10, v25
	v_fma_f32 v6, v66, s4, -v6
	v_mul_f32_e32 v10, 0xbf29c268, v69
	v_mul_f32_e32 v16, 0x3f52af12, v69
	v_add_f32_e32 v6, v6, v17
	v_mov_b32_e32 v11, v10
	v_mov_b32_e32 v17, v16
	v_fma_f32 v0, v66, s7, -v0
	v_fmac_f32_e32 v7, 0x3eedf032, v68
	v_fmac_f32_e32 v11, 0xbf3f9e67, v66
	;; [unrolled: 1-line block ×3, first 2 shown]
	v_add_f32_e32 v0, v0, v14
	v_fmac_f32_e32 v1, 0xbe750f2a, v68
	v_add_f32_e32 v7, v7, v18
	v_add_f32_e32 v14, v11, v22
	v_mul_f32_e32 v11, 0xbf3f9e67, v67
	v_fma_f32 v10, v66, s6, -v10
	v_add_f32_e32 v18, v17, v27
	v_mul_f32_e32 v17, 0x3f116cb1, v67
	v_add_f32_e32 v1, v1, v15
	v_mov_b32_e32 v15, v11
	v_add_f32_e32 v10, v10, v20
	v_fmac_f32_e32 v11, 0xbf29c268, v68
	v_mov_b32_e32 v19, v17
	v_fmac_f32_e32 v17, 0x3f52af12, v68
	v_mul_f32_e32 v20, 0xbf6f5d39, v69
	v_add_f32_e32 v11, v11, v21
	v_add_f32_e32 v17, v17, v28
	v_mov_b32_e32 v21, v20
	v_fma_f32 v20, v66, s5, -v20
	v_add_f32_e32 v28, v2, v54
	v_add_f32_e32 v20, v20, v29
	;; [unrolled: 1-line block ×14, first 2 shown]
	v_fmac_f32_e32 v21, 0xbeb58ec6, v66
	v_add_f32_e32 v29, v29, v33
	v_add_f32_e32 v28, v28, v36
	v_fmac_f32_e32 v15, 0x3f29c268, v68
	v_add_f32_e32 v22, v21, v59
	v_mul_f32_e32 v21, 0xbeb58ec6, v67
	v_add_f32_e32 v29, v29, v37
	v_add_f32_e32 v28, v28, v38
	;; [unrolled: 1-line block ×3, first 2 shown]
	v_fma_f32 v16, v66, s1, -v16
	v_mov_b32_e32 v23, v21
	v_mul_f32_e32 v26, 0x3f7e222b, v69
	v_mul_f32_e32 v27, 0x3df6dbef, v67
	v_add_f32_e32 v29, v29, v39
	v_add_f32_e32 v28, v28, v44
	v_fmac_f32_e32 v19, 0xbf52af12, v68
	v_add_f32_e32 v16, v16, v24
	v_fmac_f32_e32 v23, 0x3f6f5d39, v68
	v_mov_b32_e32 v24, v26
	v_mov_b32_e32 v25, v27
	v_add_f32_e32 v29, v29, v45
	v_add_f32_e32 v28, v28, v52
	v_add_f32_e32 v59, v55, v57
	v_sub_f32_e32 v55, v55, v57
	v_add_f32_e32 v19, v19, v58
	v_add_f32_e32 v23, v23, v62
	v_fmac_f32_e32 v24, 0x3df6dbef, v66
	v_fmac_f32_e32 v25, 0xbf7e222b, v68
	v_fma_f32 v26, v66, s0, -v26
	v_add_f32_e32 v29, v29, v53
	v_add_f32_e32 v28, v28, v56
	;; [unrolled: 1-line block ×3, first 2 shown]
	v_sub_f32_e32 v54, v54, v56
	v_mul_f32_e32 v56, 0xbeedf032, v55
	v_mul_f32_e32 v62, 0xbf52af12, v55
	;; [unrolled: 1-line block ×6, first 2 shown]
	v_fmac_f32_e32 v21, 0xbf6f5d39, v68
	v_add_f32_e32 v25, v25, v63
	v_add_f32_e32 v29, v29, v57
	v_mov_b32_e32 v57, v56
	v_mov_b32_e32 v63, v62
	;; [unrolled: 1-line block ×6, first 2 shown]
	v_add_f32_e32 v5, v5, v100
	v_add_f32_e32 v21, v21, v60
	;; [unrolled: 1-line block ×3, first 2 shown]
	v_fmac_f32_e32 v27, 0x3f7e222b, v68
	v_fmac_f32_e32 v57, 0x3f62ad3f, v58
	v_mul_f32_e32 v60, 0x3f62ad3f, v59
	v_fma_f32 v56, v58, s4, -v56
	v_fmac_f32_e32 v63, 0x3f116cb1, v58
	v_mul_f32_e32 v64, 0x3f116cb1, v59
	v_fma_f32 v62, v58, s1, -v62
	;; [unrolled: 3-line block ×6, first 2 shown]
	v_add_f32_e32 v24, v24, v61
	v_add_f32_e32 v27, v27, v65
	;; [unrolled: 1-line block ×3, first 2 shown]
	v_mov_b32_e32 v61, v60
	v_add_f32_e32 v56, v2, v56
	v_add_f32_e32 v63, v2, v63
	v_mov_b32_e32 v65, v64
	v_add_f32_e32 v62, v2, v62
	v_add_f32_e32 v67, v2, v67
	;; [unrolled: 3-line block ×6, first 2 shown]
	v_sub_f32_e32 v47, v47, v53
	v_fmac_f32_e32 v61, 0x3eedf032, v54
	v_fmac_f32_e32 v60, 0xbeedf032, v54
	;; [unrolled: 1-line block ×12, first 2 shown]
	v_add_f32_e32 v54, v46, v52
	v_sub_f32_e32 v46, v46, v52
	v_mul_f32_e32 v52, 0xbf52af12, v47
	v_mov_b32_e32 v53, v52
	v_fmac_f32_e32 v53, 0x3f116cb1, v54
	v_add_f32_e32 v53, v53, v57
	v_mul_f32_e32 v57, 0x3f116cb1, v55
	v_add_f32_e32 v60, v3, v60
	v_mov_b32_e32 v58, v57
	v_fma_f32 v52, v54, s1, -v52
	v_fmac_f32_e32 v57, 0xbf52af12, v46
	v_add_f32_e32 v52, v52, v56
	v_add_f32_e32 v56, v57, v60
	v_mul_f32_e32 v57, 0xbf6f5d39, v47
	v_add_f32_e32 v61, v3, v61
	v_add_f32_e32 v65, v3, v65
	;; [unrolled: 1-line block ×11, first 2 shown]
	v_mov_b32_e32 v59, v57
	v_fma_f32 v57, v54, s5, -v57
	v_fmac_f32_e32 v58, 0x3f52af12, v46
	v_fmac_f32_e32 v59, 0xbeb58ec6, v54
	v_mul_f32_e32 v60, 0xbeb58ec6, v55
	v_add_f32_e32 v57, v57, v62
	v_mul_f32_e32 v62, 0xbe750f2a, v47
	v_add_f32_e32 v58, v58, v61
	v_add_f32_e32 v59, v59, v63
	v_mov_b32_e32 v61, v60
	v_fmac_f32_e32 v60, 0xbf6f5d39, v46
	v_mov_b32_e32 v63, v62
	v_fma_f32 v62, v54, s7, -v62
	v_fmac_f32_e32 v61, 0x3f6f5d39, v46
	v_add_f32_e32 v60, v60, v64
	v_fmac_f32_e32 v63, 0xbf788fa5, v54
	v_mul_f32_e32 v64, 0xbf788fa5, v55
	v_add_f32_e32 v62, v62, v66
	v_mul_f32_e32 v66, 0x3f29c268, v47
	v_add_f32_e32 v61, v61, v65
	v_add_f32_e32 v63, v63, v67
	v_mov_b32_e32 v65, v64
	v_fmac_f32_e32 v64, 0xbe750f2a, v46
	v_mov_b32_e32 v67, v66
	v_fma_f32 v66, v54, s6, -v66
	v_fmac_f32_e32 v65, 0x3e750f2a, v46
	v_add_f32_e32 v64, v64, v68
	v_fmac_f32_e32 v67, 0xbf3f9e67, v54
	v_mul_f32_e32 v68, 0xbf3f9e67, v55
	v_add_f32_e32 v66, v66, v70
	v_mul_f32_e32 v70, 0x3f7e222b, v47
	v_add_f32_e32 v65, v65, v69
	v_add_f32_e32 v67, v67, v71
	v_mov_b32_e32 v69, v68
	v_fmac_f32_e32 v68, 0x3f29c268, v46
	v_mov_b32_e32 v71, v70
	v_fma_f32 v70, v54, s0, -v70
	v_mul_f32_e32 v47, 0x3eedf032, v47
	v_fmac_f32_e32 v69, 0xbf29c268, v46
	v_add_f32_e32 v68, v68, v72
	v_fmac_f32_e32 v71, 0x3df6dbef, v54
	v_mul_f32_e32 v72, 0x3df6dbef, v55
	v_add_f32_e32 v70, v70, v74
	v_mov_b32_e32 v74, v47
	v_mul_f32_e32 v55, 0x3f62ad3f, v55
	v_fma_f32 v47, v54, s4, -v47
	v_add_f32_e32 v69, v69, v73
	v_add_f32_e32 v71, v71, v75
	v_mov_b32_e32 v73, v72
	v_mov_b32_e32 v75, v55
	v_add_f32_e32 v2, v47, v2
	v_add_f32_e32 v47, v43, v45
	v_sub_f32_e32 v43, v43, v45
	v_fmac_f32_e32 v73, 0xbf7e222b, v46
	v_fmac_f32_e32 v72, 0x3f7e222b, v46
	;; [unrolled: 1-line block ×4, first 2 shown]
	v_add_f32_e32 v46, v42, v44
	v_sub_f32_e32 v42, v42, v44
	v_mul_f32_e32 v44, 0xbf7e222b, v43
	v_mov_b32_e32 v45, v44
	v_fmac_f32_e32 v45, 0x3df6dbef, v46
	v_add_f32_e32 v45, v45, v53
	v_mul_f32_e32 v53, 0x3df6dbef, v47
	v_fmac_f32_e32 v74, 0x3f62ad3f, v54
	v_mov_b32_e32 v54, v53
	v_fma_f32 v44, v46, s0, -v44
	v_fmac_f32_e32 v53, 0xbf7e222b, v42
	v_add_f32_e32 v44, v44, v52
	v_add_f32_e32 v52, v53, v56
	v_mul_f32_e32 v53, 0xbe750f2a, v43
	v_add_f32_e32 v3, v55, v3
	v_mov_b32_e32 v55, v53
	v_fma_f32 v53, v46, s7, -v53
	v_fmac_f32_e32 v54, 0x3f7e222b, v42
	v_fmac_f32_e32 v55, 0xbf788fa5, v46
	v_mul_f32_e32 v56, 0xbf788fa5, v47
	v_add_f32_e32 v53, v53, v57
	v_mul_f32_e32 v57, 0x3f6f5d39, v43
	v_add_f32_e32 v54, v54, v58
	v_add_f32_e32 v55, v55, v59
	v_mov_b32_e32 v58, v56
	v_fmac_f32_e32 v56, 0xbe750f2a, v42
	v_mov_b32_e32 v59, v57
	v_fma_f32 v57, v46, s5, -v57
	v_fmac_f32_e32 v58, 0x3e750f2a, v42
	v_add_f32_e32 v56, v56, v60
	v_fmac_f32_e32 v59, 0xbeb58ec6, v46
	v_mul_f32_e32 v60, 0xbeb58ec6, v47
	v_add_f32_e32 v57, v57, v62
	v_mul_f32_e32 v62, 0x3eedf032, v43
	v_add_f32_e32 v58, v58, v61
	v_add_f32_e32 v59, v59, v63
	v_mov_b32_e32 v61, v60
	v_fmac_f32_e32 v60, 0x3f6f5d39, v42
	v_mov_b32_e32 v63, v62
	v_fma_f32 v62, v46, s4, -v62
	v_fmac_f32_e32 v61, 0xbf6f5d39, v42
	v_add_f32_e32 v60, v60, v64
	v_fmac_f32_e32 v63, 0x3f62ad3f, v46
	v_mul_f32_e32 v64, 0x3f62ad3f, v47
	v_add_f32_e32 v62, v62, v66
	v_mul_f32_e32 v66, 0xbf52af12, v43
	v_add_f32_e32 v61, v61, v65
	v_add_f32_e32 v63, v63, v67
	v_mov_b32_e32 v65, v64
	v_fmac_f32_e32 v64, 0x3eedf032, v42
	v_mov_b32_e32 v67, v66
	v_fma_f32 v66, v46, s1, -v66
	v_mul_f32_e32 v43, 0xbf29c268, v43
	v_fmac_f32_e32 v65, 0xbeedf032, v42
	v_add_f32_e32 v64, v64, v68
	v_fmac_f32_e32 v67, 0x3f116cb1, v46
	v_mul_f32_e32 v68, 0x3f116cb1, v47
	v_add_f32_e32 v66, v66, v70
	v_mov_b32_e32 v70, v43
	v_mul_f32_e32 v47, 0xbf3f9e67, v47
	v_fma_f32 v43, v46, s6, -v43
	v_add_f32_e32 v65, v65, v69
	v_add_f32_e32 v67, v67, v71
	v_mov_b32_e32 v69, v68
	v_mov_b32_e32 v71, v47
	v_add_f32_e32 v2, v43, v2
	v_add_f32_e32 v43, v41, v39
	v_sub_f32_e32 v39, v41, v39
	v_fmac_f32_e32 v69, 0x3f52af12, v42
	v_fmac_f32_e32 v68, 0xbf52af12, v42
	;; [unrolled: 1-line block ×4, first 2 shown]
	v_add_f32_e32 v42, v40, v38
	v_sub_f32_e32 v38, v40, v38
	v_mul_f32_e32 v40, 0xbf6f5d39, v39
	v_mov_b32_e32 v41, v40
	v_fmac_f32_e32 v41, 0xbeb58ec6, v42
	v_add_f32_e32 v41, v41, v45
	v_mul_f32_e32 v45, 0xbeb58ec6, v43
	v_fmac_f32_e32 v70, 0xbf3f9e67, v46
	v_mov_b32_e32 v46, v45
	v_fma_f32 v40, v42, s5, -v40
	v_fmac_f32_e32 v45, 0xbf6f5d39, v38
	v_add_f32_e32 v40, v40, v44
	v_add_f32_e32 v44, v45, v52
	v_mul_f32_e32 v45, 0x3f29c268, v39
	v_add_f32_e32 v3, v47, v3
	v_mov_b32_e32 v47, v45
	v_fma_f32 v45, v42, s6, -v45
	v_fmac_f32_e32 v46, 0x3f6f5d39, v38
	v_fmac_f32_e32 v47, 0xbf3f9e67, v42
	v_mul_f32_e32 v52, 0xbf3f9e67, v43
	v_add_f32_e32 v45, v45, v53
	v_mul_f32_e32 v53, 0x3eedf032, v39
	v_add_f32_e32 v46, v46, v54
	v_add_f32_e32 v47, v47, v55
	v_mov_b32_e32 v54, v52
	v_fmac_f32_e32 v52, 0x3f29c268, v38
	v_mov_b32_e32 v55, v53
	v_fma_f32 v53, v42, s4, -v53
	v_fmac_f32_e32 v54, 0xbf29c268, v38
	v_add_f32_e32 v52, v52, v56
	v_fmac_f32_e32 v55, 0x3f62ad3f, v42
	v_mul_f32_e32 v56, 0x3f62ad3f, v43
	v_add_f32_e32 v53, v53, v57
	v_mul_f32_e32 v57, 0xbf7e222b, v39
	v_add_f32_e32 v54, v54, v58
	v_add_f32_e32 v55, v55, v59
	v_mov_b32_e32 v58, v56
	v_fmac_f32_e32 v56, 0x3eedf032, v38
	v_mov_b32_e32 v59, v57
	v_fma_f32 v57, v42, s0, -v57
	v_fmac_f32_e32 v58, 0xbeedf032, v38
	v_add_f32_e32 v56, v56, v60
	v_fmac_f32_e32 v59, 0x3df6dbef, v42
	v_mul_f32_e32 v60, 0x3df6dbef, v43
	v_add_f32_e32 v57, v57, v62
	v_mul_f32_e32 v62, 0x3e750f2a, v39
	v_add_f32_e32 v58, v58, v61
	v_add_f32_e32 v59, v59, v63
	v_mov_b32_e32 v61, v60
	v_fmac_f32_e32 v60, 0xbf7e222b, v38
	v_mov_b32_e32 v63, v62
	v_fma_f32 v62, v42, s7, -v62
	v_mul_f32_e32 v39, 0x3f52af12, v39
	v_fmac_f32_e32 v61, 0x3f7e222b, v38
	v_add_f32_e32 v60, v60, v64
	v_fmac_f32_e32 v63, 0xbf788fa5, v42
	v_mul_f32_e32 v64, 0xbf788fa5, v43
	v_add_f32_e32 v62, v62, v66
	v_mov_b32_e32 v66, v39
	v_mul_f32_e32 v43, 0x3f116cb1, v43
	v_fma_f32 v39, v42, s1, -v39
	v_add_f32_e32 v61, v61, v65
	v_add_f32_e32 v63, v63, v67
	v_mov_b32_e32 v65, v64
	v_mov_b32_e32 v67, v43
	v_add_f32_e32 v2, v39, v2
	v_add_f32_e32 v39, v35, v37
	v_sub_f32_e32 v35, v35, v37
	v_fmac_f32_e32 v65, 0xbe750f2a, v38
	v_fmac_f32_e32 v64, 0x3e750f2a, v38
	;; [unrolled: 1-line block ×4, first 2 shown]
	v_add_f32_e32 v38, v34, v36
	v_sub_f32_e32 v34, v34, v36
	v_mul_f32_e32 v36, 0xbf29c268, v35
	v_mov_b32_e32 v37, v36
	v_fmac_f32_e32 v37, 0xbf3f9e67, v38
	v_add_f32_e32 v37, v37, v41
	v_mul_f32_e32 v41, 0xbf3f9e67, v39
	v_fmac_f32_e32 v66, 0x3f116cb1, v42
	v_mov_b32_e32 v42, v41
	v_fma_f32 v36, v38, s6, -v36
	v_fmac_f32_e32 v41, 0xbf29c268, v34
	v_fmac_f32_e32 v42, 0x3f29c268, v34
	v_add_f32_e32 v36, v36, v40
	v_add_f32_e32 v40, v41, v44
	v_mul_f32_e32 v44, 0x3df6dbef, v39
	v_add_f32_e32 v42, v42, v46
	v_mul_f32_e32 v41, 0x3f7e222b, v35
	v_mov_b32_e32 v46, v44
	v_fmac_f32_e32 v44, 0x3f7e222b, v34
	v_add_f32_e32 v3, v43, v3
	v_mov_b32_e32 v43, v41
	v_fmac_f32_e32 v46, 0xbf7e222b, v34
	v_fma_f32 v41, v38, s0, -v41
	v_add_f32_e32 v44, v44, v52
	v_mul_f32_e32 v52, 0x3f116cb1, v39
	v_fmac_f32_e32 v43, 0x3df6dbef, v38
	v_add_f32_e32 v46, v46, v54
	v_add_f32_e32 v41, v41, v45
	v_mul_f32_e32 v45, 0xbf52af12, v35
	v_mov_b32_e32 v54, v52
	v_fmac_f32_e32 v52, 0xbf52af12, v34
	v_add_f32_e32 v43, v43, v47
	v_mov_b32_e32 v47, v45
	v_fma_f32 v45, v38, s1, -v45
	v_add_f32_e32 v56, v52, v56
	v_mul_f32_e32 v52, 0x3e750f2a, v35
	v_add_f32_e32 v45, v45, v53
	v_mov_b32_e32 v53, v52
	v_fmac_f32_e32 v53, 0xbf788fa5, v38
	v_fmac_f32_e32 v54, 0x3f52af12, v34
	v_add_f32_e32 v59, v53, v59
	v_mul_f32_e32 v53, 0xbf788fa5, v39
	v_fma_f32 v52, v38, s7, -v52
	v_add_f32_e32 v58, v54, v58
	v_mov_b32_e32 v54, v53
	v_add_f32_e32 v57, v52, v57
	v_fmac_f32_e32 v53, 0x3e750f2a, v34
	v_mul_f32_e32 v52, 0x3eedf032, v35
	v_add_f32_e32 v74, v74, v102
	v_add_f32_e32 v60, v53, v60
	v_mov_b32_e32 v53, v52
	v_fma_f32 v52, v38, s4, -v52
	v_mul_f32_e32 v35, 0xbf6f5d39, v35
	v_add_f32_e32 v73, v73, v101
	v_add_f32_e32 v75, v75, v103
	;; [unrolled: 1-line block ×3, first 2 shown]
	v_fmac_f32_e32 v53, 0x3f62ad3f, v38
	v_add_f32_e32 v62, v52, v62
	v_mov_b32_e32 v52, v35
	v_add_f32_e32 v72, v72, v100
	v_add_f32_e32 v69, v69, v73
	;; [unrolled: 1-line block ×5, first 2 shown]
	v_mul_f32_e32 v53, 0x3f62ad3f, v39
	v_fmac_f32_e32 v52, 0xbeb58ec6, v38
	v_mul_f32_e32 v39, 0xbeb58ec6, v39
	v_sub_f32_e32 v73, v31, v33
	v_add_f32_e32 v68, v68, v72
	v_add_f32_e32 v67, v67, v71
	v_fmac_f32_e32 v54, 0xbe750f2a, v34
	v_add_f32_e32 v66, v52, v66
	v_mov_b32_e32 v52, v39
	v_fma_f32 v35, v38, s5, -v35
	v_add_f32_e32 v70, v30, v32
	v_add_f32_e32 v71, v31, v33
	v_sub_f32_e32 v72, v30, v32
	v_mul_f32_e32 v30, 0xbe750f2a, v73
	v_add_f32_e32 v64, v64, v68
	v_add_f32_e32 v61, v54, v61
	v_mov_b32_e32 v54, v53
	v_fmac_f32_e32 v52, 0x3f6f5d39, v34
	v_add_f32_e32 v68, v35, v2
	v_fmac_f32_e32 v39, 0xbf6f5d39, v34
	v_mov_b32_e32 v2, v30
	v_mul_f32_e32 v31, 0xbf788fa5, v71
	v_fma_f32 v30, v70, s7, -v30
	v_mul_f32_e32 v32, 0x3eedf032, v73
	v_add_f32_e32 v65, v65, v69
	v_fmac_f32_e32 v54, 0xbeedf032, v34
	v_fmac_f32_e32 v53, 0x3eedf032, v34
	v_add_f32_e32 v67, v52, v67
	v_add_f32_e32 v69, v39, v3
	v_mov_b32_e32 v3, v31
	v_add_f32_e32 v52, v30, v36
	v_fmac_f32_e32 v31, 0xbe750f2a, v72
	v_mov_b32_e32 v30, v32
	v_mul_f32_e32 v33, 0x3f62ad3f, v71
	v_fma_f32 v32, v70, s4, -v32
	v_mul_f32_e32 v34, 0xbf29c268, v73
	v_fmac_f32_e32 v47, 0x3f116cb1, v38
	v_add_f32_e32 v65, v54, v65
	v_add_f32_e32 v64, v53, v64
	v_add_f32_e32 v53, v31, v40
	v_mov_b32_e32 v31, v33
	v_add_f32_e32 v54, v32, v41
	v_mov_b32_e32 v32, v34
	v_add_f32_e32 v47, v47, v55
	v_fmac_f32_e32 v3, 0x3e750f2a, v72
	v_fmac_f32_e32 v30, 0x3f62ad3f, v70
	;; [unrolled: 1-line block ×4, first 2 shown]
	v_add_f32_e32 v5, v5, v117
	v_fmac_f32_e32 v2, 0xbf788fa5, v70
	v_add_f32_e32 v3, v3, v42
	v_add_f32_e32 v30, v30, v43
	;; [unrolled: 1-line block ×3, first 2 shown]
	v_fmac_f32_e32 v33, 0x3eedf032, v72
	v_add_f32_e32 v32, v32, v47
	v_mul_f32_e32 v35, 0xbf3f9e67, v71
	v_fma_f32 v34, v70, s6, -v34
	v_mul_f32_e32 v38, 0x3f52af12, v73
	v_mul_f32_e32 v39, 0x3f116cb1, v71
	;; [unrolled: 1-line block ×6, first 2 shown]
	v_add_f32_e32 v4, v4, v118
	v_add_f32_e32 v5, v5, v119
	;; [unrolled: 1-line block ×4, first 2 shown]
	v_mov_b32_e32 v33, v35
	v_add_f32_e32 v34, v34, v45
	v_mov_b32_e32 v36, v38
	v_mov_b32_e32 v37, v39
	;; [unrolled: 1-line block ×6, first 2 shown]
	v_fmac_f32_e32 v33, 0x3f29c268, v72
	v_fmac_f32_e32 v35, 0xbf29c268, v72
	;; [unrolled: 1-line block ×4, first 2 shown]
	v_fma_f32 v38, v70, s1, -v38
	v_fmac_f32_e32 v39, 0x3f52af12, v72
	v_fmac_f32_e32 v40, 0xbeb58ec6, v70
	;; [unrolled: 1-line block ×3, first 2 shown]
	v_fma_f32 v42, v70, s5, -v42
	v_fmac_f32_e32 v43, 0xbf6f5d39, v72
	v_fmac_f32_e32 v44, 0x3df6dbef, v70
	;; [unrolled: 1-line block ×3, first 2 shown]
	v_fma_f32 v46, v70, s0, -v46
	v_fmac_f32_e32 v47, 0x3f7e222b, v72
	s_waitcnt lgkmcnt(0)
	; wave barrier
	ds_write2_b64 v230, v[4:5], v[8:9] offset1:26
	ds_write2_b64 v230, v[12:13], v[14:15] offset0:52 offset1:78
	ds_write2_b64 v230, v[18:19], v[22:23] offset0:104 offset1:130
	;; [unrolled: 1-line block ×4, first 2 shown]
	v_add_u32_e32 v4, 0x800, v230
	v_add_f32_e32 v33, v33, v58
	v_add_f32_e32 v35, v35, v56
	v_add_f32_e32 v36, v36, v59
	v_add_f32_e32 v37, v37, v61
	v_add_f32_e32 v38, v38, v57
	v_add_f32_e32 v39, v39, v60
	v_add_f32_e32 v40, v40, v63
	v_add_f32_e32 v41, v41, v65
	v_add_f32_e32 v42, v42, v62
	v_add_f32_e32 v43, v43, v64
	v_add_f32_e32 v44, v44, v66
	v_add_f32_e32 v45, v45, v67
	v_add_f32_e32 v46, v46, v68
	v_add_f32_e32 v47, v47, v69
	ds_write2_b64 v4, v[10:11], v[6:7] offset0:4 offset1:30
	ds_write_b64 v230, v[0:1] offset:2496
	ds_write2_b64 v231, v[28:29], v[2:3] offset1:26
	ds_write2_b64 v231, v[30:31], v[32:33] offset0:52 offset1:78
	ds_write2_b64 v231, v[36:37], v[40:41] offset0:104 offset1:130
	;; [unrolled: 1-line block ×4, first 2 shown]
	v_add_u32_e32 v0, 0x800, v231
	ds_write2_b64 v0, v[34:35], v[54:55] offset0:4 offset1:30
	ds_write_b64 v231, v[52:53] offset:2496
	s_waitcnt lgkmcnt(0)
	; wave barrier
	s_waitcnt lgkmcnt(0)
	ds_read2_b64 v[8:11], v223 offset1:52
	ds_read2_b64 v[44:47], v111 offset0:82 offset1:134
	ds_read2_b64 v[40:43], v114 offset0:164 offset1:216
	;; [unrolled: 1-line block ×11, first 2 shown]
	s_and_saveexec_b64 s[0:1], vcc
	s_cbranch_execz .LBB0_7
; %bb.6:
	ds_read_b64 v[54:55], v223 offset:2496
	ds_read_b64 v[52:53], v223 offset:5200
	;; [unrolled: 1-line block ×4, first 2 shown]
.LBB0_7:
	s_or_b64 exec, exec, s[0:1]
	s_waitcnt lgkmcnt(10)
	v_mul_f32_e32 v56, v77, v45
	v_fmac_f32_e32 v56, v76, v44
	v_mul_f32_e32 v44, v77, v44
	v_fma_f32 v44, v76, v45, -v44
	s_waitcnt lgkmcnt(9)
	v_mul_f32_e32 v45, v79, v41
	v_fmac_f32_e32 v45, v78, v40
	v_mul_f32_e32 v40, v79, v40
	v_fma_f32 v40, v78, v41, -v40
	;; [unrolled: 5-line block ×3, first 2 shown]
	v_mul_f32_e32 v37, v81, v47
	v_fmac_f32_e32 v37, v80, v46
	v_mul_f32_e32 v46, v81, v46
	v_fma_f32 v46, v80, v47, -v46
	v_mul_f32_e32 v47, v83, v43
	v_fmac_f32_e32 v47, v82, v42
	v_mul_f32_e32 v42, v83, v42
	v_fma_f32 v42, v82, v43, -v42
	;; [unrolled: 4-line block ×3, first 2 shown]
	s_waitcnt lgkmcnt(6)
	v_mul_f32_e32 v39, v85, v33
	v_fmac_f32_e32 v39, v84, v32
	v_mul_f32_e32 v32, v85, v32
	v_fma_f32 v32, v84, v33, -v32
	s_waitcnt lgkmcnt(5)
	v_mul_f32_e32 v33, v87, v29
	v_fmac_f32_e32 v33, v86, v28
	v_mul_f32_e32 v28, v87, v28
	v_fma_f32 v28, v86, v29, -v28
	s_waitcnt lgkmcnt(4)
	v_mul_f32_e32 v29, v208, v25
	v_fmac_f32_e32 v29, v207, v24
	v_mul_f32_e32 v24, v208, v24
	v_fma_f32 v24, v207, v25, -v24
	v_mul_f32_e32 v57, v89, v35
	v_mul_f32_e32 v25, v89, v34
	v_fmac_f32_e32 v57, v88, v34
	v_fma_f32 v34, v88, v35, -v25
	v_mul_f32_e32 v35, v91, v31
	v_mul_f32_e32 v25, v91, v30
	s_waitcnt lgkmcnt(0)
	v_mul_f32_e32 v65, v214, v13
	v_fmac_f32_e32 v35, v90, v30
	v_fma_f32 v58, v90, v31, -v25
	v_mul_f32_e32 v25, v210, v26
	v_fmac_f32_e32 v65, v213, v12
	v_mul_f32_e32 v12, v214, v12
	v_sub_f32_e32 v30, v4, v33
	v_sub_f32_e32 v31, v5, v28
	;; [unrolled: 1-line block ×4, first 2 shown]
	v_mul_f32_e32 v59, v210, v27
	v_fma_f32 v60, v209, v27, -v25
	v_fma_f32 v66, v213, v13, -v12
	v_mul_f32_e32 v12, v97, v22
	v_fma_f32 v4, v4, 2.0, -v30
	v_fma_f32 v5, v5, 2.0, -v31
	;; [unrolled: 1-line block ×4, first 2 shown]
	v_fmac_f32_e32 v59, v209, v26
	v_mul_f32_e32 v61, v93, v21
	v_mul_f32_e32 v63, v95, v17
	v_fma_f32 v68, v96, v23, -v12
	v_mul_f32_e32 v12, v99, v18
	v_mul_f32_e32 v71, v212, v15
	v_sub_f32_e32 v24, v4, v24
	v_sub_f32_e32 v25, v5, v25
	v_fmac_f32_e32 v61, v92, v20
	v_mul_f32_e32 v20, v93, v20
	v_fmac_f32_e32 v63, v94, v16
	v_mul_f32_e32 v16, v95, v16
	v_mul_f32_e32 v67, v97, v23
	v_fma_f32 v70, v98, v19, -v12
	v_fmac_f32_e32 v71, v211, v14
	v_mul_f32_e32 v12, v212, v14
	v_sub_f32_e32 v14, v44, v36
	v_fma_f32 v26, v4, 2.0, -v24
	v_fma_f32 v27, v5, 2.0, -v25
	v_sub_f32_e32 v4, v6, v35
	v_sub_f32_e32 v5, v7, v58
	;; [unrolled: 1-line block ×4, first 2 shown]
	v_fma_f32 v62, v92, v21, -v20
	v_fma_f32 v64, v94, v17, -v16
	v_fmac_f32_e32 v67, v96, v22
	v_mul_f32_e32 v69, v99, v19
	v_sub_f32_e32 v22, v10, v47
	v_sub_f32_e32 v21, v37, v43
	v_fma_f32 v32, v57, 2.0, -v35
	v_fma_f32 v33, v34, 2.0, -v36
	v_add_f32_e32 v34, v4, v36
	v_sub_f32_e32 v35, v5, v35
	v_fmac_f32_e32 v69, v98, v18
	v_fma_f32 v72, v211, v15, -v12
	v_sub_f32_e32 v17, v9, v40
	v_sub_f32_e32 v15, v56, v41
	v_fma_f32 v18, v10, 2.0, -v22
	v_fma_f32 v10, v37, 2.0, -v21
	;; [unrolled: 1-line block ×6, first 2 shown]
	v_sub_f32_e32 v4, v0, v63
	v_sub_f32_e32 v5, v1, v64
	;; [unrolled: 1-line block ×6, first 2 shown]
	v_fma_f32 v38, v0, 2.0, -v4
	v_fma_f32 v39, v1, 2.0, -v5
	;; [unrolled: 1-line block ×4, first 2 shown]
	v_add_f32_e32 v40, v4, v40
	v_sub_f32_e32 v41, v5, v41
	v_sub_f32_e32 v16, v8, v45
	v_fma_f32 v19, v11, 2.0, -v23
	v_fma_f32 v11, v46, 2.0, -v20
	;; [unrolled: 1-line block ×4, first 2 shown]
	v_sub_f32_e32 v4, v2, v69
	v_sub_f32_e32 v5, v3, v70
	;; [unrolled: 1-line block ×4, first 2 shown]
	v_fma_f32 v12, v8, 2.0, -v16
	v_fma_f32 v13, v9, 2.0, -v17
	;; [unrolled: 1-line block ×4, first 2 shown]
	v_add_f32_e32 v14, v16, v14
	v_sub_f32_e32 v15, v17, v15
	v_add_f32_e32 v20, v22, v20
	v_sub_f32_e32 v21, v23, v21
	;; [unrolled: 2-line block ×3, first 2 shown]
	v_sub_f32_e32 v32, v6, v32
	v_sub_f32_e32 v33, v7, v33
	v_fma_f32 v44, v2, 2.0, -v4
	v_fma_f32 v45, v3, 2.0, -v5
	;; [unrolled: 1-line block ×4, first 2 shown]
	v_add_f32_e32 v46, v4, v46
	v_sub_f32_e32 v47, v5, v47
	v_sub_f32_e32 v8, v12, v8
	;; [unrolled: 1-line block ×3, first 2 shown]
	v_fma_f32 v16, v16, 2.0, -v14
	v_fma_f32 v17, v17, 2.0, -v15
	v_sub_f32_e32 v10, v18, v10
	v_sub_f32_e32 v11, v19, v11
	v_fma_f32 v22, v22, 2.0, -v20
	v_fma_f32 v23, v23, 2.0, -v21
	;; [unrolled: 1-line block ×6, first 2 shown]
	v_sub_f32_e32 v0, v38, v0
	v_sub_f32_e32 v1, v39, v1
	;; [unrolled: 1-line block ×4, first 2 shown]
	v_fma_f32 v56, v4, 2.0, -v46
	v_fma_f32 v57, v5, 2.0, -v47
	v_add_u32_e32 v5, 0x800, v223
	v_add_u32_e32 v4, 0x2000, v223
	v_fma_f32 v12, v12, 2.0, -v8
	v_fma_f32 v13, v13, 2.0, -v9
	;; [unrolled: 1-line block ×8, first 2 shown]
	ds_write_b64 v223, v[16:17] offset:2704
	ds_write_b64 v223, v[8:9] offset:5408
	;; [unrolled: 1-line block ×3, first 2 shown]
	ds_write2_b64 v223, v[12:13], v[18:19] offset1:52
	ds_write_b64 v223, v[10:11] offset:5824
	ds_write2_b64 v5, v[22:23], v[30:31] offset0:134 offset1:186
	ds_write2_b64 v4, v[20:21], v[28:29] offset0:42 offset1:94
	;; [unrolled: 1-line block ×3, first 2 shown]
	v_add_u32_e32 v7, 0x1800, v223
	v_add_u32_e32 v6, 0xc00, v223
	;; [unrolled: 1-line block ×3, first 2 shown]
	ds_write2_b64 v7, v[24:25], v[32:33] offset0:12 offset1:64
	ds_write_b64 v223, v[34:35] offset:9360
	ds_write2_b64 v6, v[36:37], v[42:43] offset0:110 offset1:162
	ds_write2_b64 v8, v[38:39], v[44:45] offset0:80 offset1:132
	ds_write_b64 v223, v[56:57] offset:4784
	ds_write2_b64 v7, v[0:1], v[2:3] offset0:116 offset1:168
	ds_write2_b64 v4, v[40:41], v[46:47] offset0:198 offset1:250
	s_and_saveexec_b64 s[0:1], vcc
	s_cbranch_execz .LBB0_9
; %bb.8:
	v_mul_f32_e32 v0, v51, v106
	v_fma_f32 v0, v50, v107, -v0
	v_sub_f32_e32 v6, v55, v0
	v_mul_f32_e32 v9, v49, v53
	v_mul_f32_e32 v0, v202, v105
	v_fmac_f32_e32 v9, v48, v52
	v_fmac_f32_e32 v0, v201, v104
	v_sub_f32_e32 v11, v9, v0
	v_mul_f32_e32 v0, v51, v107
	v_fmac_f32_e32 v0, v50, v106
	v_sub_f32_e32 v13, v54, v0
	v_mul_f32_e32 v0, v49, v52
	v_fma_f32 v10, v48, v53, -v0
	v_mul_f32_e32 v0, v202, v104
	v_fma_f32 v0, v201, v105, -v0
	v_sub_f32_e32 v1, v6, v11
	v_sub_f32_e32 v12, v10, v0
	v_fma_f32 v3, v6, 2.0, -v1
	v_fma_f32 v6, v55, 2.0, -v6
	;; [unrolled: 1-line block ×3, first 2 shown]
	v_sub_f32_e32 v10, v6, v10
	v_add_f32_e32 v0, v13, v12
	v_fma_f32 v12, v6, 2.0, -v10
	v_fma_f32 v6, v54, 2.0, -v13
	;; [unrolled: 1-line block ×3, first 2 shown]
	v_sub_f32_e32 v9, v6, v9
	v_fma_f32 v11, v6, 2.0, -v9
	v_fma_f32 v2, v13, 2.0, -v0
	ds_write_b64 v223, v[11:12] offset:2496
	ds_write_b64 v223, v[2:3] offset:5200
	;; [unrolled: 1-line block ×4, first 2 shown]
.LBB0_9:
	s_or_b64 exec, exec, s[0:1]
	s_waitcnt lgkmcnt(0)
	; wave barrier
	s_waitcnt lgkmcnt(0)
	ds_read2_b64 v[9:12], v223 offset1:52
	v_mad_u64_u32 v[13:14], s[0:1], s10, v164, 0
	s_mov_b32 s0, 0x7ab2bedd
	s_mov_b32 s1, 0x3f483c97
	s_waitcnt lgkmcnt(0)
	v_mul_f32_e32 v1, v180, v10
	v_fmac_f32_e32 v1, v179, v9
	v_cvt_f64_f32_e32 v[1:2], v1
	v_mul_f32_e32 v3, v180, v9
	v_fma_f32 v3, v179, v10, -v3
	v_cvt_f64_f32_e32 v[9:10], v3
	v_mul_f64 v[1:2], v[1:2], s[0:1]
	v_mov_b32_e32 v0, v14
	v_add_u32_e32 v6, 0x1000, v223
	v_mul_f64 v[9:10], v[9:10], s[0:1]
	v_mov_b32_e32 v19, s3
	s_mul_hi_u32 s3, s8, 0x1520
	v_mad_u64_u32 v[14:15], s[4:5], s11, v164, v[0:1]
	v_mad_u64_u32 v[15:16], s[4:5], s8, v225, 0
	v_cvt_f32_f64_e32 v17, v[1:2]
	v_cvt_f32_f64_e32 v18, v[9:10]
	v_mov_b32_e32 v0, v16
	v_mad_u64_u32 v[9:10], s[4:5], s9, v225, v[0:1]
	ds_read2_b64 v[0:3], v6 offset0:112 offset1:164
	s_mul_hi_u32 s5, s8, 0xffffec80
	v_mov_b32_e32 v16, v9
	v_lshlrev_b64 v[9:10], 3, v[13:14]
	s_mul_i32 s4, s9, 0xffffec80
	s_waitcnt lgkmcnt(0)
	v_mul_f32_e32 v13, v176, v3
	v_fmac_f32_e32 v13, v175, v2
	v_mul_f32_e32 v2, v176, v2
	v_fma_f32 v2, v175, v3, -v2
	v_cvt_f64_f32_e32 v[13:14], v13
	v_cvt_f64_f32_e32 v[2:3], v2
	v_add_co_u32_e32 v21, vcc, s2, v9
	v_addc_co_u32_e32 v22, vcc, v19, v10, vcc
	v_mul_f64 v[9:10], v[13:14], s[0:1]
	v_mul_f64 v[2:3], v[2:3], s[0:1]
	v_lshlrev_b64 v[13:14], 3, v[15:16]
	s_mul_i32 s2, s9, 0x1520
	v_add_co_u32_e32 v13, vcc, v21, v13
	v_addc_co_u32_e32 v14, vcc, v22, v14, vcc
	v_cvt_f32_f64_e32 v9, v[9:10]
	v_cvt_f32_f64_e32 v10, v[2:3]
	v_mul_f32_e32 v2, v182, v12
	v_fmac_f32_e32 v2, v181, v11
	v_mul_f32_e32 v11, v182, v11
	v_fma_f32 v11, v181, v12, -v11
	v_cvt_f64_f32_e32 v[2:3], v2
	v_cvt_f64_f32_e32 v[11:12], v11
	s_add_i32 s2, s3, s2
	s_mul_i32 s3, s8, 0x1520
	v_mul_f64 v[2:3], v[2:3], s[0:1]
	v_mul_f64 v[11:12], v[11:12], s[0:1]
	global_store_dwordx2 v[13:14], v[17:18], off
	v_mov_b32_e32 v15, s2
	v_add_co_u32_e32 v17, vcc, s3, v13
	v_addc_co_u32_e32 v18, vcc, v14, v15, vcc
	global_store_dwordx2 v[17:18], v[9:10], off
	v_add_u32_e32 v9, 0x1400, v223
	v_cvt_f32_f64_e32 v2, v[2:3]
	v_cvt_f32_f64_e32 v3, v[11:12]
	ds_read2_b64 v[9:12], v9 offset0:88 offset1:140
	s_sub_i32 s5, s5, s8
	s_add_i32 s4, s5, s4
	s_mul_i32 s5, s8, 0xffffec80
	v_mov_b32_e32 v23, s4
	s_waitcnt lgkmcnt(0)
	v_mul_f32_e32 v13, v184, v10
	v_fmac_f32_e32 v13, v183, v9
	v_mul_f32_e32 v9, v184, v9
	v_fma_f32 v9, v183, v10, -v9
	v_cvt_f64_f32_e32 v[13:14], v13
	v_cvt_f64_f32_e32 v[9:10], v9
	v_add_co_u32_e32 v17, vcc, s5, v17
	v_mul_f64 v[19:20], v[13:14], s[0:1]
	v_mul_f64 v[9:10], v[9:10], s[0:1]
	ds_read2_b64 v[13:16], v223 offset0:104 offset1:156
	v_addc_co_u32_e32 v18, vcc, v18, v23, vcc
	global_store_dwordx2 v[17:18], v[2:3], off
	v_mov_b32_e32 v23, s2
	s_waitcnt lgkmcnt(0)
	v_mul_f32_e32 v2, v166, v14
	v_fmac_f32_e32 v2, v165, v13
	v_cvt_f32_f64_e32 v19, v[19:20]
	v_cvt_f32_f64_e32 v20, v[9:10]
	v_mul_f32_e32 v9, v166, v13
	v_add_co_u32_e32 v13, vcc, s3, v17
	v_fma_f32 v9, v165, v14, -v9
	v_addc_co_u32_e32 v14, vcc, v18, v23, vcc
	buffer_load_dword v23, off, s[20:23], 0 ; 4-byte Folded Reload
	v_cvt_f64_f32_e32 v[2:3], v2
	v_cvt_f64_f32_e32 v[9:10], v9
	global_store_dwordx2 v[13:14], v[19:20], off
	v_mov_b32_e32 v19, s4
	v_mul_f64 v[2:3], v[2:3], s[0:1]
	v_mul_f64 v[9:10], v[9:10], s[0:1]
	v_add_co_u32_e32 v13, vcc, s5, v13
	v_addc_co_u32_e32 v14, vcc, v14, v19, vcc
	v_mov_b32_e32 v19, s2
	v_cvt_f32_f64_e32 v2, v[2:3]
	v_mul_f32_e32 v3, v172, v12
	v_fmac_f32_e32 v3, v171, v11
	v_cvt_f64_f32_e32 v[17:18], v3
	v_mul_f32_e32 v3, v172, v11
	v_fma_f32 v3, v171, v12, -v3
	v_cvt_f64_f32_e32 v[11:12], v3
	v_cvt_f32_f64_e32 v3, v[9:10]
	v_mul_f64 v[9:10], v[17:18], s[0:1]
	v_mul_f64 v[11:12], v[11:12], s[0:1]
	global_store_dwordx2 v[13:14], v[2:3], off
	v_mul_f32_e32 v2, v168, v16
	v_fmac_f32_e32 v2, v167, v15
	v_cvt_f64_f32_e32 v[2:3], v2
	v_add_co_u32_e32 v13, vcc, s3, v13
	v_cvt_f32_f64_e32 v17, v[9:10]
	v_mul_f64 v[2:3], v[2:3], s[0:1]
	v_mul_f32_e32 v9, v168, v15
	v_fma_f32 v9, v167, v16, -v9
	v_cvt_f64_f32_e32 v[15:16], v9
	v_cvt_f32_f64_e32 v18, v[11:12]
	ds_read2_b64 v[9:12], v7 offset0:64 offset1:116
	v_addc_co_u32_e32 v14, vcc, v14, v19, vcc
	v_mul_f64 v[15:16], v[15:16], s[0:1]
	v_cvt_f32_f64_e32 v2, v[2:3]
	s_waitcnt lgkmcnt(0)
	v_mul_f32_e32 v3, v163, v10
	v_fmac_f32_e32 v3, v162, v9
	global_store_dwordx2 v[13:14], v[17:18], off
	v_cvt_f64_f32_e32 v[17:18], v3
	v_mul_f32_e32 v3, v163, v9
	v_fma_f32 v3, v162, v10, -v3
	v_cvt_f64_f32_e32 v[9:10], v3
	v_cvt_f32_f64_e32 v3, v[15:16]
	v_mul_f64 v[15:16], v[17:18], s[0:1]
	v_mov_b32_e32 v19, s4
	v_mul_f64 v[9:10], v[9:10], s[0:1]
	v_add_co_u32_e32 v17, vcc, s5, v13
	v_addc_co_u32_e32 v18, vcc, v14, v19, vcc
	global_store_dwordx2 v[17:18], v[2:3], off
	v_cvt_f32_f64_e32 v19, v[15:16]
	ds_read2_b64 v[13:16], v8 offset0:80 offset1:132
	v_cvt_f32_f64_e32 v20, v[9:10]
	s_waitcnt vmcnt(4)
	v_mad_u64_u32 v[2:3], s[6:7], s8, v23, 0
	v_mad_u64_u32 v[8:9], s[6:7], s9, v23, v[3:4]
	s_waitcnt lgkmcnt(0)
	v_mul_f32_e32 v3, v159, v14
	v_fmac_f32_e32 v3, v158, v13
	v_cvt_f64_f32_e32 v[9:10], v3
	v_mul_f32_e32 v3, v159, v13
	v_fma_f32 v3, v158, v14, -v3
	v_cvt_f64_f32_e32 v[13:14], v3
	v_mov_b32_e32 v3, v8
	v_mul_f64 v[8:9], v[9:10], s[0:1]
	v_lshlrev_b64 v[2:3], 3, v[2:3]
	v_mul_f64 v[13:14], v[13:14], s[0:1]
	v_add_co_u32_e32 v2, vcc, v21, v2
	v_addc_co_u32_e32 v3, vcc, v22, v3, vcc
	global_store_dwordx2 v[2:3], v[19:20], off
	v_cvt_f32_f64_e32 v2, v[8:9]
	v_mul_f32_e32 v8, v200, v12
	v_cvt_f32_f64_e32 v3, v[13:14]
	v_mov_b32_e32 v13, 0x1a0
	v_fmac_f32_e32 v8, v199, v11
	v_mul_f32_e32 v10, v200, v11
	v_cvt_f64_f32_e32 v[8:9], v8
	v_fma_f32 v10, v199, v12, -v10
	v_mad_u64_u32 v[12:13], s[6:7], s8, v13, v[17:18]
	v_cvt_f64_f32_e32 v[10:11], v10
	s_mul_i32 s6, s9, 0x1a0
	v_mul_f64 v[8:9], v[8:9], s[0:1]
	v_add_u32_e32 v13, s6, v13
	global_store_dwordx2 v[12:13], v[2:3], off
	v_mul_f32_e32 v2, v198, v16
	v_mul_f64 v[10:11], v[10:11], s[0:1]
	v_fmac_f32_e32 v2, v197, v15
	v_cvt_f64_f32_e32 v[2:3], v2
	v_add_co_u32_e32 v19, vcc, s3, v12
	v_cvt_f32_f64_e32 v17, v[8:9]
	v_mul_f64 v[2:3], v[2:3], s[0:1]
	v_mul_f32_e32 v8, v198, v15
	v_fma_f32 v8, v197, v16, -v8
	v_cvt_f32_f64_e32 v18, v[10:11]
	v_cvt_f64_f32_e32 v[14:15], v8
	ds_read2_b64 v[7:10], v7 offset0:168 offset1:220
	v_mov_b32_e32 v11, s2
	v_addc_co_u32_e32 v20, vcc, v13, v11, vcc
	v_mul_f64 v[11:12], v[14:15], s[0:1]
	v_cvt_f32_f64_e32 v2, v[2:3]
	s_waitcnt lgkmcnt(0)
	v_mul_f32_e32 v3, v196, v8
	v_fmac_f32_e32 v3, v195, v7
	v_cvt_f64_f32_e32 v[13:14], v3
	v_mul_f32_e32 v3, v196, v7
	v_fma_f32 v3, v195, v8, -v3
	v_cvt_f64_f32_e32 v[7:8], v3
	v_cvt_f32_f64_e32 v3, v[11:12]
	v_mul_f64 v[15:16], v[13:14], s[0:1]
	ds_read2_b64 v[11:14], v5 offset0:56 offset1:108
	v_mul_f64 v[7:8], v[7:8], s[0:1]
	global_store_dwordx2 v[19:20], v[17:18], off
	v_mov_b32_e32 v18, s4
	v_add_co_u32_e32 v17, vcc, s5, v19
	v_addc_co_u32_e32 v18, vcc, v20, v18, vcc
	global_store_dwordx2 v[17:18], v[2:3], off
	s_waitcnt lgkmcnt(0)
	v_mul_f32_e32 v2, v192, v12
	v_fmac_f32_e32 v2, v191, v11
	v_cvt_f64_f32_e32 v[2:3], v2
	v_cvt_f32_f64_e32 v15, v[15:16]
	v_cvt_f32_f64_e32 v16, v[7:8]
	v_mul_f32_e32 v7, v192, v11
	v_fma_f32 v7, v191, v12, -v7
	v_mul_f64 v[2:3], v[2:3], s[0:1]
	v_cvt_f64_f32_e32 v[7:8], v7
	v_mov_b32_e32 v19, s2
	v_add_co_u32_e32 v11, vcc, s3, v17
	v_mul_f64 v[7:8], v[7:8], s[0:1]
	v_addc_co_u32_e32 v12, vcc, v18, v19, vcc
	v_cvt_f32_f64_e32 v2, v[2:3]
	v_mul_f32_e32 v3, v194, v10
	v_fmac_f32_e32 v3, v193, v9
	global_store_dwordx2 v[11:12], v[15:16], off
	v_cvt_f64_f32_e32 v[15:16], v3
	v_mul_f32_e32 v3, v194, v9
	v_fma_f32 v3, v193, v10, -v3
	v_cvt_f64_f32_e32 v[9:10], v3
	v_cvt_f32_f64_e32 v3, v[7:8]
	v_mov_b32_e32 v17, s4
	v_mul_f64 v[7:8], v[15:16], s[0:1]
	v_add_co_u32_e32 v11, vcc, s5, v11
	v_addc_co_u32_e32 v12, vcc, v12, v17, vcc
	global_store_dwordx2 v[11:12], v[2:3], off
	v_mul_f32_e32 v2, v188, v14
	v_mul_f64 v[9:10], v[9:10], s[0:1]
	v_fmac_f32_e32 v2, v187, v13
	v_cvt_f64_f32_e32 v[2:3], v2
	v_cvt_f32_f64_e32 v15, v[7:8]
	v_mul_f32_e32 v7, v188, v13
	v_fma_f32 v7, v187, v14, -v7
	v_mul_f64 v[2:3], v[2:3], s[0:1]
	v_cvt_f64_f32_e32 v[13:14], v7
	v_cvt_f32_f64_e32 v16, v[9:10]
	ds_read2_b64 v[7:10], v4 offset0:16 offset1:68
	v_mov_b32_e32 v18, s2
	v_add_co_u32_e32 v17, vcc, s3, v11
	v_addc_co_u32_e32 v18, vcc, v12, v18, vcc
	v_mul_f64 v[11:12], v[13:14], s[0:1]
	v_cvt_f32_f64_e32 v2, v[2:3]
	s_waitcnt lgkmcnt(0)
	v_mul_f32_e32 v3, v190, v8
	v_fmac_f32_e32 v3, v189, v7
	v_cvt_f64_f32_e32 v[13:14], v3
	v_mul_f32_e32 v3, v190, v7
	v_fma_f32 v3, v189, v8, -v3
	v_cvt_f64_f32_e32 v[7:8], v3
	global_store_dwordx2 v[17:18], v[15:16], off
	v_cvt_f32_f64_e32 v3, v[11:12]
	v_mul_f64 v[15:16], v[13:14], s[0:1]
	ds_read2_b64 v[11:14], v5 offset0:160 offset1:212
	v_mov_b32_e32 v19, s4
	v_mul_f64 v[7:8], v[7:8], s[0:1]
	v_add_co_u32_e32 v17, vcc, s5, v17
	v_addc_co_u32_e32 v18, vcc, v18, v19, vcc
	global_store_dwordx2 v[17:18], v[2:3], off
	s_waitcnt lgkmcnt(0)
	v_mul_f32_e32 v2, v186, v12
	v_fmac_f32_e32 v2, v185, v11
	v_cvt_f64_f32_e32 v[2:3], v2
	v_cvt_f32_f64_e32 v15, v[15:16]
	v_cvt_f32_f64_e32 v16, v[7:8]
	v_mul_f32_e32 v7, v186, v11
	v_mul_f64 v[2:3], v[2:3], s[0:1]
	v_fma_f32 v7, v185, v12, -v7
	v_cvt_f64_f32_e32 v[7:8], v7
	v_mov_b32_e32 v5, s2
	v_add_co_u32_e32 v11, vcc, s3, v17
	v_mul_f64 v[7:8], v[7:8], s[0:1]
	v_addc_co_u32_e32 v12, vcc, v18, v5, vcc
	v_cvt_f32_f64_e32 v2, v[2:3]
	v_mul_f32_e32 v3, v178, v10
	v_fmac_f32_e32 v3, v177, v9
	global_store_dwordx2 v[11:12], v[15:16], off
	v_cvt_f64_f32_e32 v[15:16], v3
	v_mul_f32_e32 v3, v178, v9
	v_fma_f32 v3, v177, v10, -v3
	v_cvt_f64_f32_e32 v[9:10], v3
	v_cvt_f32_f64_e32 v3, v[7:8]
	v_mov_b32_e32 v5, s4
	v_mul_f64 v[7:8], v[15:16], s[0:1]
	v_mul_f64 v[9:10], v[9:10], s[0:1]
	v_add_co_u32_e32 v11, vcc, s5, v11
	v_addc_co_u32_e32 v12, vcc, v12, v5, vcc
	global_store_dwordx2 v[11:12], v[2:3], off
	v_mul_f32_e32 v2, v174, v14
	v_fmac_f32_e32 v2, v173, v13
	v_cvt_f64_f32_e32 v[2:3], v2
	v_cvt_f32_f64_e32 v7, v[7:8]
	v_cvt_f32_f64_e32 v8, v[9:10]
	v_mov_b32_e32 v15, s2
	v_mul_f64 v[9:10], v[2:3], s[0:1]
	v_mul_f32_e32 v2, v174, v13
	v_fma_f32 v2, v173, v14, -v2
	v_cvt_f64_f32_e32 v[13:14], v2
	ds_read2_b64 v[2:5], v4 offset0:120 offset1:172
	v_add_co_u32_e32 v11, vcc, s3, v11
	v_addc_co_u32_e32 v12, vcc, v12, v15, vcc
	global_store_dwordx2 v[11:12], v[7:8], off
	v_mul_f64 v[7:8], v[13:14], s[0:1]
	v_cvt_f32_f64_e32 v13, v[9:10]
	s_waitcnt lgkmcnt(0)
	v_mul_f32_e32 v9, v170, v3
	v_fmac_f32_e32 v9, v169, v2
	v_mul_f32_e32 v2, v170, v2
	v_fma_f32 v2, v169, v3, -v2
	v_cvt_f64_f32_e32 v[2:3], v2
	v_cvt_f64_f32_e32 v[9:10], v9
	v_cvt_f32_f64_e32 v14, v[7:8]
	v_mov_b32_e32 v7, s4
	v_mul_f64 v[2:3], v[2:3], s[0:1]
	v_mul_f64 v[15:16], v[9:10], s[0:1]
	v_add_co_u32_e32 v10, vcc, s5, v11
	v_addc_co_u32_e32 v11, vcc, v12, v7, vcc
	ds_read2_b64 v[6:9], v6 offset0:8 offset1:60
	global_store_dwordx2 v[10:11], v[13:14], off
	v_cvt_f32_f64_e32 v13, v[2:3]
	v_cvt_f32_f64_e32 v12, v[15:16]
	v_mov_b32_e32 v14, s2
	s_waitcnt lgkmcnt(0)
	v_mul_f32_e32 v2, v153, v7
	v_fmac_f32_e32 v2, v152, v6
	v_mul_f32_e32 v6, v153, v6
	v_fma_f32 v6, v152, v7, -v6
	v_cvt_f64_f32_e32 v[2:3], v2
	v_cvt_f64_f32_e32 v[6:7], v6
	v_add_co_u32_e32 v10, vcc, s3, v10
	v_mul_f64 v[2:3], v[2:3], s[0:1]
	v_mul_f64 v[6:7], v[6:7], s[0:1]
	v_addc_co_u32_e32 v11, vcc, v11, v14, vcc
	global_store_dwordx2 v[10:11], v[12:13], off
	v_mul_f32_e32 v12, v161, v5
	v_fmac_f32_e32 v12, v160, v4
	v_mul_f32_e32 v4, v161, v4
	v_fma_f32 v4, v160, v5, -v4
	v_cvt_f64_f32_e32 v[12:13], v12
	v_cvt_f64_f32_e32 v[4:5], v4
	v_cvt_f32_f64_e32 v2, v[2:3]
	v_cvt_f32_f64_e32 v3, v[6:7]
	v_mul_f64 v[6:7], v[12:13], s[0:1]
	v_mul_f64 v[4:5], v[4:5], s[0:1]
	v_mov_b32_e32 v12, s4
	v_add_co_u32_e32 v10, vcc, s5, v10
	v_addc_co_u32_e32 v11, vcc, v11, v12, vcc
	global_store_dwordx2 v[10:11], v[2:3], off
	v_mul_f32_e32 v2, v151, v9
	v_fmac_f32_e32 v2, v150, v8
	v_cvt_f64_f32_e32 v[12:13], v2
	v_mul_f32_e32 v2, v151, v8
	v_fma_f32 v2, v150, v9, -v2
	v_cvt_f64_f32_e32 v[8:9], v2
	v_add_u32_e32 v2, 0x2400, v223
	v_cvt_f32_f64_e32 v6, v[6:7]
	v_cvt_f32_f64_e32 v7, v[4:5]
	ds_read2_b64 v[2:5], v2 offset0:96 offset1:148
	v_add_co_u32_e32 v10, vcc, s3, v10
	v_addc_co_u32_e32 v11, vcc, v11, v14, vcc
	global_store_dwordx2 v[10:11], v[6:7], off
	v_mul_f64 v[6:7], v[12:13], s[0:1]
	s_waitcnt lgkmcnt(0)
	v_mul_f32_e32 v12, v157, v3
	v_fmac_f32_e32 v12, v156, v2
	v_mul_f32_e32 v2, v157, v2
	v_fma_f32 v2, v156, v3, -v2
	v_mul_f64 v[8:9], v[8:9], s[0:1]
	v_cvt_f64_f32_e32 v[2:3], v2
	v_cvt_f64_f32_e32 v[12:13], v12
	v_cvt_f32_f64_e32 v6, v[6:7]
	v_add_co_u32_e32 v10, vcc, s5, v10
	v_mul_f64 v[2:3], v[2:3], s[0:1]
	v_cvt_f32_f64_e32 v7, v[8:9]
	v_mul_f64 v[8:9], v[12:13], s[0:1]
	v_mov_b32_e32 v12, s4
	v_addc_co_u32_e32 v11, vcc, v11, v12, vcc
	global_store_dwordx2 v[10:11], v[6:7], off
	v_cvt_f32_f64_e32 v7, v[2:3]
	v_mul_f32_e32 v2, v149, v1
	v_fmac_f32_e32 v2, v148, v0
	v_mul_f32_e32 v0, v149, v0
	v_fma_f32 v0, v148, v1, -v0
	v_cvt_f64_f32_e32 v[2:3], v2
	v_cvt_f64_f32_e32 v[0:1], v0
	v_cvt_f32_f64_e32 v6, v[8:9]
	v_mov_b32_e32 v9, s2
	v_add_co_u32_e32 v8, vcc, s3, v10
	v_addc_co_u32_e32 v9, vcc, v11, v9, vcc
	v_mul_f64 v[2:3], v[2:3], s[0:1]
	v_mul_f64 v[0:1], v[0:1], s[0:1]
	global_store_dwordx2 v[8:9], v[6:7], off
	v_mul_f32_e32 v6, v155, v5
	v_fmac_f32_e32 v6, v154, v4
	v_mul_f32_e32 v4, v155, v4
	v_fma_f32 v4, v154, v5, -v4
	v_cvt_f64_f32_e32 v[6:7], v6
	v_cvt_f64_f32_e32 v[4:5], v4
	v_cvt_f32_f64_e32 v2, v[2:3]
	v_cvt_f32_f64_e32 v3, v[0:1]
	v_mul_f64 v[0:1], v[6:7], s[0:1]
	v_mul_f64 v[4:5], v[4:5], s[0:1]
	v_mov_b32_e32 v7, s4
	v_add_co_u32_e32 v6, vcc, s5, v8
	v_addc_co_u32_e32 v7, vcc, v9, v7, vcc
	global_store_dwordx2 v[6:7], v[2:3], off
	v_cvt_f32_f64_e32 v0, v[0:1]
	v_cvt_f32_f64_e32 v1, v[4:5]
	v_mov_b32_e32 v3, s2
	v_add_co_u32_e32 v2, vcc, s3, v6
	v_addc_co_u32_e32 v3, vcc, v7, v3, vcc
	global_store_dwordx2 v[2:3], v[0:1], off
.LBB0_10:
	s_endpgm
	.section	.rodata,"a",@progbits
	.p2align	6, 0x0
	.amdhsa_kernel bluestein_single_back_len1352_dim1_sp_op_CI_CI
		.amdhsa_group_segment_fixed_size 10816
		.amdhsa_private_segment_fixed_size 48
		.amdhsa_kernarg_size 104
		.amdhsa_user_sgpr_count 6
		.amdhsa_user_sgpr_private_segment_buffer 1
		.amdhsa_user_sgpr_dispatch_ptr 0
		.amdhsa_user_sgpr_queue_ptr 0
		.amdhsa_user_sgpr_kernarg_segment_ptr 1
		.amdhsa_user_sgpr_dispatch_id 0
		.amdhsa_user_sgpr_flat_scratch_init 0
		.amdhsa_user_sgpr_private_segment_size 0
		.amdhsa_uses_dynamic_stack 0
		.amdhsa_system_sgpr_private_segment_wavefront_offset 1
		.amdhsa_system_sgpr_workgroup_id_x 1
		.amdhsa_system_sgpr_workgroup_id_y 0
		.amdhsa_system_sgpr_workgroup_id_z 0
		.amdhsa_system_sgpr_workgroup_info 0
		.amdhsa_system_vgpr_workitem_id 0
		.amdhsa_next_free_vgpr 256
		.amdhsa_next_free_sgpr 24
		.amdhsa_reserve_vcc 1
		.amdhsa_reserve_flat_scratch 0
		.amdhsa_float_round_mode_32 0
		.amdhsa_float_round_mode_16_64 0
		.amdhsa_float_denorm_mode_32 3
		.amdhsa_float_denorm_mode_16_64 3
		.amdhsa_dx10_clamp 1
		.amdhsa_ieee_mode 1
		.amdhsa_fp16_overflow 0
		.amdhsa_exception_fp_ieee_invalid_op 0
		.amdhsa_exception_fp_denorm_src 0
		.amdhsa_exception_fp_ieee_div_zero 0
		.amdhsa_exception_fp_ieee_overflow 0
		.amdhsa_exception_fp_ieee_underflow 0
		.amdhsa_exception_fp_ieee_inexact 0
		.amdhsa_exception_int_div_zero 0
	.end_amdhsa_kernel
	.text
.Lfunc_end0:
	.size	bluestein_single_back_len1352_dim1_sp_op_CI_CI, .Lfunc_end0-bluestein_single_back_len1352_dim1_sp_op_CI_CI
                                        ; -- End function
	.section	.AMDGPU.csdata,"",@progbits
; Kernel info:
; codeLenInByte = 35104
; NumSgprs: 28
; NumVgprs: 256
; ScratchSize: 48
; MemoryBound: 0
; FloatMode: 240
; IeeeMode: 1
; LDSByteSize: 10816 bytes/workgroup (compile time only)
; SGPRBlocks: 3
; VGPRBlocks: 63
; NumSGPRsForWavesPerEU: 28
; NumVGPRsForWavesPerEU: 256
; Occupancy: 1
; WaveLimiterHint : 1
; COMPUTE_PGM_RSRC2:SCRATCH_EN: 1
; COMPUTE_PGM_RSRC2:USER_SGPR: 6
; COMPUTE_PGM_RSRC2:TRAP_HANDLER: 0
; COMPUTE_PGM_RSRC2:TGID_X_EN: 1
; COMPUTE_PGM_RSRC2:TGID_Y_EN: 0
; COMPUTE_PGM_RSRC2:TGID_Z_EN: 0
; COMPUTE_PGM_RSRC2:TIDIG_COMP_CNT: 0
	.type	__hip_cuid_1e283be5b640851e,@object ; @__hip_cuid_1e283be5b640851e
	.section	.bss,"aw",@nobits
	.globl	__hip_cuid_1e283be5b640851e
__hip_cuid_1e283be5b640851e:
	.byte	0                               ; 0x0
	.size	__hip_cuid_1e283be5b640851e, 1

	.ident	"AMD clang version 19.0.0git (https://github.com/RadeonOpenCompute/llvm-project roc-6.4.0 25133 c7fe45cf4b819c5991fe208aaa96edf142730f1d)"
	.section	".note.GNU-stack","",@progbits
	.addrsig
	.addrsig_sym __hip_cuid_1e283be5b640851e
	.amdgpu_metadata
---
amdhsa.kernels:
  - .args:
      - .actual_access:  read_only
        .address_space:  global
        .offset:         0
        .size:           8
        .value_kind:     global_buffer
      - .actual_access:  read_only
        .address_space:  global
        .offset:         8
        .size:           8
        .value_kind:     global_buffer
      - .actual_access:  read_only
        .address_space:  global
        .offset:         16
        .size:           8
        .value_kind:     global_buffer
      - .actual_access:  read_only
        .address_space:  global
        .offset:         24
        .size:           8
        .value_kind:     global_buffer
      - .actual_access:  read_only
        .address_space:  global
        .offset:         32
        .size:           8
        .value_kind:     global_buffer
      - .offset:         40
        .size:           8
        .value_kind:     by_value
      - .address_space:  global
        .offset:         48
        .size:           8
        .value_kind:     global_buffer
      - .address_space:  global
        .offset:         56
        .size:           8
        .value_kind:     global_buffer
      - .address_space:  global
        .offset:         64
        .size:           8
        .value_kind:     global_buffer
      - .address_space:  global
        .offset:         72
        .size:           8
        .value_kind:     global_buffer
      - .offset:         80
        .size:           4
        .value_kind:     by_value
      - .address_space:  global
        .offset:         88
        .size:           8
        .value_kind:     global_buffer
      - .address_space:  global
        .offset:         96
        .size:           8
        .value_kind:     global_buffer
    .group_segment_fixed_size: 10816
    .kernarg_segment_align: 8
    .kernarg_segment_size: 104
    .language:       OpenCL C
    .language_version:
      - 2
      - 0
    .max_flat_workgroup_size: 52
    .name:           bluestein_single_back_len1352_dim1_sp_op_CI_CI
    .private_segment_fixed_size: 48
    .sgpr_count:     28
    .sgpr_spill_count: 0
    .symbol:         bluestein_single_back_len1352_dim1_sp_op_CI_CI.kd
    .uniform_work_group_size: 1
    .uses_dynamic_stack: false
    .vgpr_count:     256
    .vgpr_spill_count: 11
    .wavefront_size: 64
amdhsa.target:   amdgcn-amd-amdhsa--gfx906
amdhsa.version:
  - 1
  - 2
...

	.end_amdgpu_metadata
